;; amdgpu-corpus repo=ROCm/rccl kind=compiled arch=gfx906 opt=O3
	.amdgcn_target "amdgcn-amd-amdhsa--gfx906"
	.amdhsa_code_object_version 6
	.text
	.p2align	2                               ; -- Begin function __ockl_fprintf_append_string_n
	.type	__ockl_fprintf_append_string_n,@function
__ockl_fprintf_append_string_n:         ; @__ockl_fprintf_append_string_n
; %bb.0:
	s_waitcnt vmcnt(0) expcnt(0) lgkmcnt(0)
	v_or_b32_e32 v2, 2, v0
	v_cmp_eq_u32_e32 vcc, 0, v6
	s_getpc_b64 s[4:5]
	s_add_u32 s4, s4, .str.3@rel32@lo+4
	s_addc_u32 s5, s5, .str.3@rel32@hi+12
	s_mov_b32 s20, 0
	v_cndmask_b32_e32 v36, v2, v0, vcc
	s_mov_b64 s[6:7], 0
	s_cmp_lg_u64 s[4:5], 0
	v_mbcnt_lo_u32_b32 v37, -1, 0
	s_cbranch_scc0 .LBB0_112
; %bb.1:
	s_load_dwordx2 s[10:11], s[8:9], 0x50
	s_getpc_b64 s[4:5]
	s_add_u32 s4, s4, .str.3@rel32@lo+4
	s_addc_u32 s5, s5, .str.3@rel32@hi+12
	v_and_b32_e32 v0, -3, v36
	v_mov_b32_e32 v31, s5
	v_mov_b32_e32 v11, v1
	v_and_b32_e32 v38, 2, v36
	v_mov_b32_e32 v3, 0
	v_mbcnt_hi_u32_b32 v39, -1, v37
	v_mov_b32_e32 v30, s4
	s_movk_i32 s21, 0x1e0
	v_mov_b32_e32 v8, 2
	v_mov_b32_e32 v9, 1
	;; [unrolled: 1-line block ×3, first 2 shown]
	s_branch .LBB0_3
.LBB0_2:                                ;   in Loop: Header=BB0_3 Depth=1
	s_or_b64 exec, exec, s[14:15]
	v_sub_co_u32_e32 v4, vcc, v4, v32
	v_subb_co_u32_e32 v5, vcc, v5, v33, vcc
	v_cmp_eq_u64_e32 vcc, 0, v[4:5]
	s_or_b64 s[6:7], vcc, s[6:7]
	v_add_co_u32_e32 v30, vcc, v30, v32
	v_addc_co_u32_e32 v31, vcc, v31, v33, vcc
	s_andn2_b64 exec, exec, s[6:7]
	s_cbranch_execz .LBB0_85
.LBB0_3:                                ; =>This Loop Header: Depth=1
                                        ;     Child Loop BB0_6 Depth 2
                                        ;     Child Loop BB0_14 Depth 2
	;; [unrolled: 1-line block ×11, first 2 shown]
	v_cmp_gt_u64_e32 vcc, 56, v[4:5]
	v_add_co_u32_e64 v16, s[4:5], 8, v30
	v_cndmask_b32_e32 v33, 0, v5, vcc
	v_cndmask_b32_e32 v32, 56, v4, vcc
	v_cmp_gt_u64_e32 vcc, 8, v[4:5]
	v_addc_co_u32_e64 v17, s[4:5], 0, v31, s[4:5]
	s_and_saveexec_b64 s[4:5], vcc
	s_xor_b64 s[4:5], exec, s[4:5]
	s_cbranch_execz .LBB0_9
; %bb.4:                                ;   in Loop: Header=BB0_3 Depth=1
	s_waitcnt vmcnt(0)
	v_mov_b32_e32 v12, 0
	v_cmp_ne_u64_e32 vcc, 0, v[4:5]
	v_mov_b32_e32 v13, 0
	s_and_saveexec_b64 s[12:13], vcc
	s_cbranch_execz .LBB0_8
; %bb.5:                                ;   in Loop: Header=BB0_3 Depth=1
	v_lshlrev_b64 v[6:7], 3, v[32:33]
	v_mov_b32_e32 v12, 0
	v_mov_b32_e32 v14, v30
	s_mov_b64 s[14:15], 0
	v_mov_b32_e32 v13, 0
	v_mov_b32_e32 v15, v31
	s_mov_b64 s[16:17], 0
.LBB0_6:                                ;   Parent Loop BB0_3 Depth=1
                                        ; =>  This Inner Loop Header: Depth=2
	global_load_ubyte v0, v[14:15], off
	v_mov_b32_e32 v17, s20
	v_add_co_u32_e32 v14, vcc, 1, v14
	v_addc_co_u32_e32 v15, vcc, 0, v15, vcc
	s_waitcnt vmcnt(0)
	v_and_b32_e32 v16, 0xffff, v0
	v_lshlrev_b64 v[16:17], s16, v[16:17]
	s_add_u32 s16, s16, 8
	s_addc_u32 s17, s17, 0
	v_cmp_eq_u32_e32 vcc, s16, v6
	v_or_b32_e32 v13, v17, v13
	s_or_b64 s[14:15], vcc, s[14:15]
	v_or_b32_e32 v12, v16, v12
	s_andn2_b64 exec, exec, s[14:15]
	s_cbranch_execnz .LBB0_6
; %bb.7:                                ;   in Loop: Header=BB0_3 Depth=1
	s_or_b64 exec, exec, s[14:15]
.LBB0_8:                                ;   in Loop: Header=BB0_3 Depth=1
	s_or_b64 exec, exec, s[12:13]
	v_mov_b32_e32 v16, v30
	v_mov_b32_e32 v17, v31
.LBB0_9:                                ;   in Loop: Header=BB0_3 Depth=1
	s_or_saveexec_b64 s[4:5], s[4:5]
	v_mov_b32_e32 v0, 0
	s_xor_b64 exec, exec, s[4:5]
	s_cbranch_execz .LBB0_11
; %bb.10:                               ;   in Loop: Header=BB0_3 Depth=1
	global_load_dwordx2 v[12:13], v[30:31], off
	v_add_u32_e32 v0, -8, v32
.LBB0_11:                               ;   in Loop: Header=BB0_3 Depth=1
	s_or_b64 exec, exec, s[4:5]
	v_add_co_u32_e64 v6, s[4:5], 8, v16
	v_cmp_gt_u32_e32 vcc, 8, v0
	v_addc_co_u32_e64 v7, s[4:5], 0, v17, s[4:5]
                                        ; implicit-def: $vgpr14_vgpr15
	s_and_saveexec_b64 s[4:5], vcc
	s_xor_b64 s[4:5], exec, s[4:5]
	s_cbranch_execz .LBB0_17
; %bb.12:                               ;   in Loop: Header=BB0_3 Depth=1
	v_mov_b32_e32 v14, 0
	v_mov_b32_e32 v15, 0
	v_cmp_ne_u32_e32 vcc, 0, v0
	s_and_saveexec_b64 s[12:13], vcc
	s_cbranch_execz .LBB0_16
; %bb.13:                               ;   in Loop: Header=BB0_3 Depth=1
	v_mov_b32_e32 v14, 0
	s_mov_b64 s[14:15], 0
	v_mov_b32_e32 v15, 0
	s_mov_b64 s[16:17], 0
	s_mov_b64 s[18:19], 0
.LBB0_14:                               ;   Parent Loop BB0_3 Depth=1
                                        ; =>  This Inner Loop Header: Depth=2
	v_mov_b32_e32 v2, s19
	v_add_co_u32_e32 v6, vcc, s18, v16
	v_addc_co_u32_e32 v7, vcc, v17, v2, vcc
	global_load_ubyte v2, v[6:7], off
	s_add_u32 s18, s18, 1
	v_mov_b32_e32 v7, s20
	s_addc_u32 s19, s19, 0
	v_cmp_eq_u32_e32 vcc, s18, v0
	s_waitcnt vmcnt(0)
	v_and_b32_e32 v6, 0xffff, v2
	v_lshlrev_b64 v[6:7], s16, v[6:7]
	s_add_u32 s16, s16, 8
	s_addc_u32 s17, s17, 0
	v_or_b32_e32 v15, v7, v15
	s_or_b64 s[14:15], vcc, s[14:15]
	v_or_b32_e32 v14, v6, v14
	s_andn2_b64 exec, exec, s[14:15]
	s_cbranch_execnz .LBB0_14
; %bb.15:                               ;   in Loop: Header=BB0_3 Depth=1
	s_or_b64 exec, exec, s[14:15]
.LBB0_16:                               ;   in Loop: Header=BB0_3 Depth=1
	s_or_b64 exec, exec, s[12:13]
	v_mov_b32_e32 v6, v16
	v_mov_b32_e32 v7, v17
                                        ; implicit-def: $vgpr0
.LBB0_17:                               ;   in Loop: Header=BB0_3 Depth=1
	s_or_saveexec_b64 s[4:5], s[4:5]
	v_mov_b32_e32 v2, 0
	s_xor_b64 exec, exec, s[4:5]
	s_cbranch_execz .LBB0_19
; %bb.18:                               ;   in Loop: Header=BB0_3 Depth=1
	global_load_dwordx2 v[14:15], v[16:17], off
	v_add_u32_e32 v2, -8, v0
.LBB0_19:                               ;   in Loop: Header=BB0_3 Depth=1
	s_or_b64 exec, exec, s[4:5]
	v_add_co_u32_e64 v20, s[4:5], 8, v6
	v_cmp_gt_u32_e32 vcc, 8, v2
	v_addc_co_u32_e64 v21, s[4:5], 0, v7, s[4:5]
	s_and_saveexec_b64 s[4:5], vcc
	s_xor_b64 s[4:5], exec, s[4:5]
	s_cbranch_execz .LBB0_25
; %bb.20:                               ;   in Loop: Header=BB0_3 Depth=1
	v_mov_b32_e32 v16, 0
	v_mov_b32_e32 v17, 0
	v_cmp_ne_u32_e32 vcc, 0, v2
	s_and_saveexec_b64 s[12:13], vcc
	s_cbranch_execz .LBB0_24
; %bb.21:                               ;   in Loop: Header=BB0_3 Depth=1
	v_mov_b32_e32 v16, 0
	s_mov_b64 s[14:15], 0
	v_mov_b32_e32 v17, 0
	s_mov_b64 s[16:17], 0
	s_mov_b64 s[18:19], 0
.LBB0_22:                               ;   Parent Loop BB0_3 Depth=1
                                        ; =>  This Inner Loop Header: Depth=2
	v_mov_b32_e32 v0, s19
	v_add_co_u32_e32 v18, vcc, s18, v6
	v_addc_co_u32_e32 v19, vcc, v7, v0, vcc
	global_load_ubyte v0, v[18:19], off
	s_add_u32 s18, s18, 1
	v_mov_b32_e32 v19, s20
	s_addc_u32 s19, s19, 0
	v_cmp_eq_u32_e32 vcc, s18, v2
	s_waitcnt vmcnt(0)
	v_and_b32_e32 v18, 0xffff, v0
	v_lshlrev_b64 v[18:19], s16, v[18:19]
	s_add_u32 s16, s16, 8
	s_addc_u32 s17, s17, 0
	v_or_b32_e32 v17, v19, v17
	s_or_b64 s[14:15], vcc, s[14:15]
	v_or_b32_e32 v16, v18, v16
	s_andn2_b64 exec, exec, s[14:15]
	s_cbranch_execnz .LBB0_22
; %bb.23:                               ;   in Loop: Header=BB0_3 Depth=1
	s_or_b64 exec, exec, s[14:15]
.LBB0_24:                               ;   in Loop: Header=BB0_3 Depth=1
	s_or_b64 exec, exec, s[12:13]
	v_mov_b32_e32 v21, v7
	v_mov_b32_e32 v20, v6
                                        ; implicit-def: $vgpr2
.LBB0_25:                               ;   in Loop: Header=BB0_3 Depth=1
	s_or_saveexec_b64 s[4:5], s[4:5]
	v_mov_b32_e32 v0, 0
	s_xor_b64 exec, exec, s[4:5]
	s_cbranch_execz .LBB0_27
; %bb.26:                               ;   in Loop: Header=BB0_3 Depth=1
	global_load_dwordx2 v[16:17], v[6:7], off
	v_add_u32_e32 v0, -8, v2
.LBB0_27:                               ;   in Loop: Header=BB0_3 Depth=1
	s_or_b64 exec, exec, s[4:5]
	v_add_co_u32_e64 v6, s[4:5], 8, v20
	v_cmp_gt_u32_e32 vcc, 8, v0
	v_addc_co_u32_e64 v7, s[4:5], 0, v21, s[4:5]
                                        ; implicit-def: $vgpr18_vgpr19
	s_and_saveexec_b64 s[4:5], vcc
	s_xor_b64 s[4:5], exec, s[4:5]
	s_cbranch_execz .LBB0_33
; %bb.28:                               ;   in Loop: Header=BB0_3 Depth=1
	v_mov_b32_e32 v18, 0
	v_mov_b32_e32 v19, 0
	v_cmp_ne_u32_e32 vcc, 0, v0
	s_and_saveexec_b64 s[12:13], vcc
	s_cbranch_execz .LBB0_32
; %bb.29:                               ;   in Loop: Header=BB0_3 Depth=1
	v_mov_b32_e32 v18, 0
	s_mov_b64 s[14:15], 0
	v_mov_b32_e32 v19, 0
	s_mov_b64 s[16:17], 0
	s_mov_b64 s[18:19], 0
.LBB0_30:                               ;   Parent Loop BB0_3 Depth=1
                                        ; =>  This Inner Loop Header: Depth=2
	v_mov_b32_e32 v2, s19
	v_add_co_u32_e32 v6, vcc, s18, v20
	v_addc_co_u32_e32 v7, vcc, v21, v2, vcc
	global_load_ubyte v2, v[6:7], off
	s_add_u32 s18, s18, 1
	v_mov_b32_e32 v7, s20
	s_addc_u32 s19, s19, 0
	v_cmp_eq_u32_e32 vcc, s18, v0
	s_waitcnt vmcnt(0)
	v_and_b32_e32 v6, 0xffff, v2
	v_lshlrev_b64 v[6:7], s16, v[6:7]
	s_add_u32 s16, s16, 8
	s_addc_u32 s17, s17, 0
	v_or_b32_e32 v19, v7, v19
	s_or_b64 s[14:15], vcc, s[14:15]
	v_or_b32_e32 v18, v6, v18
	s_andn2_b64 exec, exec, s[14:15]
	s_cbranch_execnz .LBB0_30
; %bb.31:                               ;   in Loop: Header=BB0_3 Depth=1
	s_or_b64 exec, exec, s[14:15]
.LBB0_32:                               ;   in Loop: Header=BB0_3 Depth=1
	s_or_b64 exec, exec, s[12:13]
	v_mov_b32_e32 v6, v20
	v_mov_b32_e32 v7, v21
                                        ; implicit-def: $vgpr0
.LBB0_33:                               ;   in Loop: Header=BB0_3 Depth=1
	s_or_saveexec_b64 s[4:5], s[4:5]
	v_mov_b32_e32 v2, 0
	s_xor_b64 exec, exec, s[4:5]
	s_cbranch_execz .LBB0_35
; %bb.34:                               ;   in Loop: Header=BB0_3 Depth=1
	global_load_dwordx2 v[18:19], v[20:21], off
	v_add_u32_e32 v2, -8, v0
.LBB0_35:                               ;   in Loop: Header=BB0_3 Depth=1
	s_or_b64 exec, exec, s[4:5]
	v_add_co_u32_e64 v24, s[4:5], 8, v6
	v_cmp_gt_u32_e32 vcc, 8, v2
	v_addc_co_u32_e64 v25, s[4:5], 0, v7, s[4:5]
	s_and_saveexec_b64 s[4:5], vcc
	s_xor_b64 s[4:5], exec, s[4:5]
	s_cbranch_execz .LBB0_41
; %bb.36:                               ;   in Loop: Header=BB0_3 Depth=1
	v_mov_b32_e32 v20, 0
	v_mov_b32_e32 v21, 0
	v_cmp_ne_u32_e32 vcc, 0, v2
	s_and_saveexec_b64 s[12:13], vcc
	s_cbranch_execz .LBB0_40
; %bb.37:                               ;   in Loop: Header=BB0_3 Depth=1
	v_mov_b32_e32 v20, 0
	s_mov_b64 s[14:15], 0
	v_mov_b32_e32 v21, 0
	s_mov_b64 s[16:17], 0
	s_mov_b64 s[18:19], 0
.LBB0_38:                               ;   Parent Loop BB0_3 Depth=1
                                        ; =>  This Inner Loop Header: Depth=2
	v_mov_b32_e32 v0, s19
	v_add_co_u32_e32 v22, vcc, s18, v6
	v_addc_co_u32_e32 v23, vcc, v7, v0, vcc
	global_load_ubyte v0, v[22:23], off
	s_add_u32 s18, s18, 1
	v_mov_b32_e32 v23, s20
	s_addc_u32 s19, s19, 0
	v_cmp_eq_u32_e32 vcc, s18, v2
	s_waitcnt vmcnt(0)
	v_and_b32_e32 v22, 0xffff, v0
	v_lshlrev_b64 v[22:23], s16, v[22:23]
	s_add_u32 s16, s16, 8
	s_addc_u32 s17, s17, 0
	v_or_b32_e32 v21, v23, v21
	s_or_b64 s[14:15], vcc, s[14:15]
	v_or_b32_e32 v20, v22, v20
	s_andn2_b64 exec, exec, s[14:15]
	s_cbranch_execnz .LBB0_38
; %bb.39:                               ;   in Loop: Header=BB0_3 Depth=1
	s_or_b64 exec, exec, s[14:15]
.LBB0_40:                               ;   in Loop: Header=BB0_3 Depth=1
	s_or_b64 exec, exec, s[12:13]
	v_mov_b32_e32 v25, v7
	v_mov_b32_e32 v24, v6
                                        ; implicit-def: $vgpr2
.LBB0_41:                               ;   in Loop: Header=BB0_3 Depth=1
	s_or_saveexec_b64 s[4:5], s[4:5]
	v_mov_b32_e32 v0, 0
	s_xor_b64 exec, exec, s[4:5]
	s_cbranch_execz .LBB0_43
; %bb.42:                               ;   in Loop: Header=BB0_3 Depth=1
	global_load_dwordx2 v[20:21], v[6:7], off
	v_add_u32_e32 v0, -8, v2
.LBB0_43:                               ;   in Loop: Header=BB0_3 Depth=1
	s_or_b64 exec, exec, s[4:5]
	v_add_co_u32_e64 v6, s[4:5], 8, v24
	v_cmp_gt_u32_e32 vcc, 8, v0
	v_addc_co_u32_e64 v7, s[4:5], 0, v25, s[4:5]
                                        ; implicit-def: $vgpr22_vgpr23
	s_and_saveexec_b64 s[4:5], vcc
	s_xor_b64 s[4:5], exec, s[4:5]
	s_cbranch_execz .LBB0_49
; %bb.44:                               ;   in Loop: Header=BB0_3 Depth=1
	v_mov_b32_e32 v22, 0
	v_mov_b32_e32 v23, 0
	v_cmp_ne_u32_e32 vcc, 0, v0
	s_and_saveexec_b64 s[12:13], vcc
	s_cbranch_execz .LBB0_48
; %bb.45:                               ;   in Loop: Header=BB0_3 Depth=1
	v_mov_b32_e32 v22, 0
	s_mov_b64 s[14:15], 0
	v_mov_b32_e32 v23, 0
	s_mov_b64 s[16:17], 0
	s_mov_b64 s[18:19], 0
.LBB0_46:                               ;   Parent Loop BB0_3 Depth=1
                                        ; =>  This Inner Loop Header: Depth=2
	v_mov_b32_e32 v2, s19
	v_add_co_u32_e32 v6, vcc, s18, v24
	v_addc_co_u32_e32 v7, vcc, v25, v2, vcc
	global_load_ubyte v2, v[6:7], off
	s_add_u32 s18, s18, 1
	v_mov_b32_e32 v7, s20
	s_addc_u32 s19, s19, 0
	v_cmp_eq_u32_e32 vcc, s18, v0
	s_waitcnt vmcnt(0)
	v_and_b32_e32 v6, 0xffff, v2
	v_lshlrev_b64 v[6:7], s16, v[6:7]
	s_add_u32 s16, s16, 8
	s_addc_u32 s17, s17, 0
	v_or_b32_e32 v23, v7, v23
	s_or_b64 s[14:15], vcc, s[14:15]
	v_or_b32_e32 v22, v6, v22
	s_andn2_b64 exec, exec, s[14:15]
	s_cbranch_execnz .LBB0_46
; %bb.47:                               ;   in Loop: Header=BB0_3 Depth=1
	s_or_b64 exec, exec, s[14:15]
.LBB0_48:                               ;   in Loop: Header=BB0_3 Depth=1
	s_or_b64 exec, exec, s[12:13]
	v_mov_b32_e32 v6, v24
	v_mov_b32_e32 v7, v25
                                        ; implicit-def: $vgpr0
.LBB0_49:                               ;   in Loop: Header=BB0_3 Depth=1
	s_or_saveexec_b64 s[4:5], s[4:5]
	v_mov_b32_e32 v2, 0
	s_xor_b64 exec, exec, s[4:5]
	s_cbranch_execz .LBB0_51
; %bb.50:                               ;   in Loop: Header=BB0_3 Depth=1
	global_load_dwordx2 v[22:23], v[24:25], off
	v_add_u32_e32 v2, -8, v0
.LBB0_51:                               ;   in Loop: Header=BB0_3 Depth=1
	s_or_b64 exec, exec, s[4:5]
	v_cmp_gt_u32_e32 vcc, 8, v2
	s_and_saveexec_b64 s[4:5], vcc
	s_xor_b64 s[4:5], exec, s[4:5]
	s_cbranch_execz .LBB0_57
; %bb.52:                               ;   in Loop: Header=BB0_3 Depth=1
	v_mov_b32_e32 v24, 0
	v_mov_b32_e32 v25, 0
	v_cmp_ne_u32_e32 vcc, 0, v2
	s_and_saveexec_b64 s[12:13], vcc
	s_cbranch_execz .LBB0_56
; %bb.53:                               ;   in Loop: Header=BB0_3 Depth=1
	v_mov_b32_e32 v24, 0
	s_mov_b64 s[14:15], 0
	v_mov_b32_e32 v25, 0
	s_mov_b64 s[16:17], 0
.LBB0_54:                               ;   Parent Loop BB0_3 Depth=1
                                        ; =>  This Inner Loop Header: Depth=2
	global_load_ubyte v0, v[6:7], off
	v_mov_b32_e32 v27, s20
	v_add_co_u32_e32 v6, vcc, 1, v6
	v_add_u32_e32 v2, -1, v2
	v_addc_co_u32_e32 v7, vcc, 0, v7, vcc
	v_cmp_eq_u32_e32 vcc, 0, v2
	s_waitcnt vmcnt(0)
	v_and_b32_e32 v26, 0xffff, v0
	v_lshlrev_b64 v[26:27], s16, v[26:27]
	s_add_u32 s16, s16, 8
	s_addc_u32 s17, s17, 0
	v_or_b32_e32 v25, v27, v25
	s_or_b64 s[14:15], vcc, s[14:15]
	v_or_b32_e32 v24, v26, v24
	s_andn2_b64 exec, exec, s[14:15]
	s_cbranch_execnz .LBB0_54
; %bb.55:                               ;   in Loop: Header=BB0_3 Depth=1
	s_or_b64 exec, exec, s[14:15]
.LBB0_56:                               ;   in Loop: Header=BB0_3 Depth=1
	s_or_b64 exec, exec, s[12:13]
                                        ; implicit-def: $vgpr6_vgpr7
.LBB0_57:                               ;   in Loop: Header=BB0_3 Depth=1
	s_andn2_saveexec_b64 s[4:5], s[4:5]
	s_cbranch_execz .LBB0_59
; %bb.58:                               ;   in Loop: Header=BB0_3 Depth=1
	global_load_dwordx2 v[24:25], v[6:7], off
.LBB0_59:                               ;   in Loop: Header=BB0_3 Depth=1
	s_or_b64 exec, exec, s[4:5]
	v_readfirstlane_b32 s4, v39
	v_mov_b32_e32 v6, 0
	v_mov_b32_e32 v7, 0
	v_cmp_eq_u32_e64 s[4:5], s4, v39
	s_and_saveexec_b64 s[12:13], s[4:5]
	s_cbranch_execz .LBB0_65
; %bb.60:                               ;   in Loop: Header=BB0_3 Depth=1
	s_waitcnt lgkmcnt(0)
	global_load_dwordx2 v[28:29], v3, s[10:11] offset:24 glc
	s_waitcnt vmcnt(0)
	buffer_wbinvl1_vol
	global_load_dwordx2 v[6:7], v3, s[10:11] offset:40
	global_load_dwordx2 v[26:27], v3, s[10:11]
	s_waitcnt vmcnt(1)
	v_and_b32_e32 v0, v6, v28
	v_and_b32_e32 v2, v7, v29
	v_mul_lo_u32 v2, v2, 24
	v_mul_hi_u32 v6, v0, 24
	v_mul_lo_u32 v0, v0, 24
	v_add_u32_e32 v2, v6, v2
	s_waitcnt vmcnt(0)
	v_add_co_u32_e32 v6, vcc, v26, v0
	v_addc_co_u32_e32 v7, vcc, v27, v2, vcc
	global_load_dwordx2 v[26:27], v[6:7], off glc
	s_waitcnt vmcnt(0)
	global_atomic_cmpswap_x2 v[6:7], v3, v[26:29], s[10:11] offset:24 glc
	s_waitcnt vmcnt(0)
	buffer_wbinvl1_vol
	v_cmp_ne_u64_e32 vcc, v[6:7], v[28:29]
	s_and_saveexec_b64 s[14:15], vcc
	s_cbranch_execz .LBB0_64
; %bb.61:                               ;   in Loop: Header=BB0_3 Depth=1
	s_mov_b64 s[16:17], 0
.LBB0_62:                               ;   Parent Loop BB0_3 Depth=1
                                        ; =>  This Inner Loop Header: Depth=2
	s_sleep 1
	global_load_dwordx2 v[26:27], v3, s[10:11] offset:40
	global_load_dwordx2 v[34:35], v3, s[10:11]
	v_mov_b32_e32 v29, v7
	v_mov_b32_e32 v28, v6
	s_waitcnt vmcnt(1)
	v_and_b32_e32 v0, v26, v28
	s_waitcnt vmcnt(0)
	v_mad_u64_u32 v[6:7], s[18:19], v0, 24, v[34:35]
	v_and_b32_e32 v2, v27, v29
	v_mov_b32_e32 v0, v7
	v_mad_u64_u32 v[26:27], s[18:19], v2, 24, v[0:1]
	v_mov_b32_e32 v7, v26
	global_load_dwordx2 v[26:27], v[6:7], off glc
	s_waitcnt vmcnt(0)
	global_atomic_cmpswap_x2 v[6:7], v3, v[26:29], s[10:11] offset:24 glc
	s_waitcnt vmcnt(0)
	buffer_wbinvl1_vol
	v_cmp_eq_u64_e32 vcc, v[6:7], v[28:29]
	s_or_b64 s[16:17], vcc, s[16:17]
	s_andn2_b64 exec, exec, s[16:17]
	s_cbranch_execnz .LBB0_62
; %bb.63:                               ;   in Loop: Header=BB0_3 Depth=1
	s_or_b64 exec, exec, s[16:17]
.LBB0_64:                               ;   in Loop: Header=BB0_3 Depth=1
	s_or_b64 exec, exec, s[14:15]
.LBB0_65:                               ;   in Loop: Header=BB0_3 Depth=1
	s_or_b64 exec, exec, s[12:13]
	s_waitcnt lgkmcnt(0)
	global_load_dwordx2 v[34:35], v3, s[10:11] offset:40
	global_load_dwordx4 v[26:29], v3, s[10:11]
	v_readfirstlane_b32 s13, v7
	v_readfirstlane_b32 s12, v6
	s_mov_b64 s[14:15], exec
	s_waitcnt vmcnt(1)
	v_readfirstlane_b32 s16, v34
	v_readfirstlane_b32 s17, v35
	s_and_b64 s[16:17], s[16:17], s[12:13]
	s_mul_i32 s18, s17, 24
	s_mul_hi_u32 s19, s16, 24
	s_mul_i32 s22, s16, 24
	s_add_i32 s18, s19, s18
	v_mov_b32_e32 v0, s18
	s_waitcnt vmcnt(0)
	v_add_co_u32_e32 v34, vcc, s22, v26
	v_addc_co_u32_e32 v35, vcc, v27, v0, vcc
	s_and_saveexec_b64 s[18:19], s[4:5]
	s_cbranch_execz .LBB0_67
; %bb.66:                               ;   in Loop: Header=BB0_3 Depth=1
	v_mov_b32_e32 v6, s14
	v_mov_b32_e32 v7, s15
	global_store_dwordx4 v[34:35], v[6:9], off offset:8
.LBB0_67:                               ;   in Loop: Header=BB0_3 Depth=1
	s_or_b64 exec, exec, s[18:19]
	s_lshl_b64 s[14:15], s[16:17], 12
	v_mov_b32_e32 v2, s15
	v_add_co_u32_e32 v0, vcc, s14, v28
	v_addc_co_u32_e32 v28, vcc, v29, v2, vcc
	v_cmp_gt_u64_e32 vcc, 57, v[4:5]
	v_and_b32_e32 v7, 0xffffff1f, v10
	v_cndmask_b32_e32 v2, 0, v38, vcc
	v_lshl_add_u32 v6, v32, 2, 28
	v_or_b32_e32 v2, v7, v2
	v_and_or_b32 v10, v6, s21, v2
	v_lshlrev_b32_e32 v29, 6, v39
	v_readfirstlane_b32 s14, v0
	v_readfirstlane_b32 s15, v28
	s_nop 4
	global_store_dwordx4 v29, v[10:13], s[14:15]
	global_store_dwordx4 v29, v[14:17], s[14:15] offset:16
	global_store_dwordx4 v29, v[18:21], s[14:15] offset:32
	;; [unrolled: 1-line block ×3, first 2 shown]
	s_and_saveexec_b64 s[14:15], s[4:5]
	s_cbranch_execz .LBB0_75
; %bb.68:                               ;   in Loop: Header=BB0_3 Depth=1
	global_load_dwordx2 v[14:15], v3, s[10:11] offset:32 glc
	global_load_dwordx2 v[6:7], v3, s[10:11] offset:40
	v_mov_b32_e32 v12, s12
	v_mov_b32_e32 v13, s13
	s_waitcnt vmcnt(0)
	v_readfirstlane_b32 s16, v6
	v_readfirstlane_b32 s17, v7
	s_and_b64 s[16:17], s[16:17], s[12:13]
	s_mul_i32 s17, s17, 24
	s_mul_hi_u32 s18, s16, 24
	s_mul_i32 s16, s16, 24
	s_add_i32 s17, s18, s17
	v_mov_b32_e32 v2, s17
	v_add_co_u32_e32 v6, vcc, s16, v26
	v_addc_co_u32_e32 v7, vcc, v27, v2, vcc
	global_store_dwordx2 v[6:7], v[14:15], off
	s_waitcnt vmcnt(0)
	global_atomic_cmpswap_x2 v[12:13], v3, v[12:15], s[10:11] offset:32 glc
	s_waitcnt vmcnt(0)
	v_cmp_ne_u64_e32 vcc, v[12:13], v[14:15]
	s_and_saveexec_b64 s[16:17], vcc
	s_cbranch_execz .LBB0_71
; %bb.69:                               ;   in Loop: Header=BB0_3 Depth=1
	s_mov_b64 s[18:19], 0
.LBB0_70:                               ;   Parent Loop BB0_3 Depth=1
                                        ; =>  This Inner Loop Header: Depth=2
	s_sleep 1
	global_store_dwordx2 v[6:7], v[12:13], off
	v_mov_b32_e32 v10, s12
	v_mov_b32_e32 v11, s13
	s_waitcnt vmcnt(0)
	global_atomic_cmpswap_x2 v[10:11], v3, v[10:13], s[10:11] offset:32 glc
	s_waitcnt vmcnt(0)
	v_cmp_eq_u64_e32 vcc, v[10:11], v[12:13]
	v_mov_b32_e32 v13, v11
	s_or_b64 s[18:19], vcc, s[18:19]
	v_mov_b32_e32 v12, v10
	s_andn2_b64 exec, exec, s[18:19]
	s_cbranch_execnz .LBB0_70
.LBB0_71:                               ;   in Loop: Header=BB0_3 Depth=1
	s_or_b64 exec, exec, s[16:17]
	global_load_dwordx2 v[6:7], v3, s[10:11] offset:16
	s_mov_b64 s[18:19], exec
	v_mbcnt_lo_u32_b32 v2, s18, 0
	v_mbcnt_hi_u32_b32 v2, s19, v2
	v_cmp_eq_u32_e32 vcc, 0, v2
	s_and_saveexec_b64 s[16:17], vcc
	s_cbranch_execz .LBB0_73
; %bb.72:                               ;   in Loop: Header=BB0_3 Depth=1
	s_bcnt1_i32_b64 s18, s[18:19]
	v_mov_b32_e32 v2, s18
	s_waitcnt vmcnt(0)
	global_atomic_add_x2 v[6:7], v[2:3], off offset:8
.LBB0_73:                               ;   in Loop: Header=BB0_3 Depth=1
	s_or_b64 exec, exec, s[16:17]
	s_waitcnt vmcnt(0)
	global_load_dwordx2 v[10:11], v[6:7], off offset:16
	s_waitcnt vmcnt(0)
	v_cmp_eq_u64_e32 vcc, 0, v[10:11]
	s_cbranch_vccnz .LBB0_75
; %bb.74:                               ;   in Loop: Header=BB0_3 Depth=1
	global_load_dword v2, v[6:7], off offset:24
	s_waitcnt vmcnt(0)
	v_readfirstlane_b32 s16, v2
	s_and_b32 m0, s16, 0xffffff
	global_store_dwordx2 v[10:11], v[2:3], off
	s_sendmsg sendmsg(MSG_INTERRUPT)
.LBB0_75:                               ;   in Loop: Header=BB0_3 Depth=1
	s_or_b64 exec, exec, s[14:15]
	v_add_co_u32_e32 v6, vcc, v0, v29
	v_addc_co_u32_e32 v7, vcc, 0, v28, vcc
	s_branch .LBB0_79
.LBB0_76:                               ;   in Loop: Header=BB0_79 Depth=2
	s_or_b64 exec, exec, s[14:15]
	v_readfirstlane_b32 s14, v0
	s_cmp_eq_u32 s14, 0
	s_cbranch_scc1 .LBB0_78
; %bb.77:                               ;   in Loop: Header=BB0_79 Depth=2
	s_sleep 1
	s_cbranch_execnz .LBB0_79
	s_branch .LBB0_81
.LBB0_78:                               ;   in Loop: Header=BB0_3 Depth=1
	s_branch .LBB0_81
.LBB0_79:                               ;   Parent Loop BB0_3 Depth=1
                                        ; =>  This Inner Loop Header: Depth=2
	v_mov_b32_e32 v0, 1
	s_and_saveexec_b64 s[14:15], s[4:5]
	s_cbranch_execz .LBB0_76
; %bb.80:                               ;   in Loop: Header=BB0_79 Depth=2
	global_load_dword v0, v[34:35], off offset:20 glc
	s_waitcnt vmcnt(0)
	buffer_wbinvl1_vol
	v_and_b32_e32 v0, 1, v0
	s_branch .LBB0_76
.LBB0_81:                               ;   in Loop: Header=BB0_3 Depth=1
	global_load_dwordx4 v[10:13], v[6:7], off
	s_and_saveexec_b64 s[14:15], s[4:5]
	s_cbranch_execz .LBB0_2
; %bb.82:                               ;   in Loop: Header=BB0_3 Depth=1
	global_load_dwordx2 v[6:7], v3, s[10:11] offset:40
	global_load_dwordx2 v[16:17], v3, s[10:11] offset:24 glc
	global_load_dwordx2 v[12:13], v3, s[10:11]
	s_waitcnt vmcnt(2)
	v_readfirstlane_b32 s16, v6
	v_readfirstlane_b32 s17, v7
	s_add_u32 s18, s16, 1
	s_addc_u32 s19, s17, 0
	s_add_u32 s4, s18, s12
	s_addc_u32 s5, s19, s13
	s_cmp_eq_u64 s[4:5], 0
	s_cselect_b32 s5, s19, s5
	s_cselect_b32 s4, s18, s4
	s_and_b64 s[12:13], s[4:5], s[16:17]
	s_mul_i32 s13, s13, 24
	s_mul_hi_u32 s16, s12, 24
	s_mul_i32 s12, s12, 24
	s_add_i32 s13, s16, s13
	v_mov_b32_e32 v0, s13
	s_waitcnt vmcnt(0)
	v_add_co_u32_e32 v6, vcc, s12, v12
	v_addc_co_u32_e32 v7, vcc, v13, v0, vcc
	v_mov_b32_e32 v14, s4
	global_store_dwordx2 v[6:7], v[16:17], off
	v_mov_b32_e32 v15, s5
	s_waitcnt vmcnt(0)
	global_atomic_cmpswap_x2 v[14:15], v3, v[14:17], s[10:11] offset:24 glc
	s_waitcnt vmcnt(0)
	v_cmp_ne_u64_e32 vcc, v[14:15], v[16:17]
	s_and_b64 exec, exec, vcc
	s_cbranch_execz .LBB0_2
; %bb.83:                               ;   in Loop: Header=BB0_3 Depth=1
	s_mov_b64 s[12:13], 0
.LBB0_84:                               ;   Parent Loop BB0_3 Depth=1
                                        ; =>  This Inner Loop Header: Depth=2
	s_sleep 1
	global_store_dwordx2 v[6:7], v[14:15], off
	v_mov_b32_e32 v12, s4
	v_mov_b32_e32 v13, s5
	s_waitcnt vmcnt(0)
	global_atomic_cmpswap_x2 v[12:13], v3, v[12:15], s[10:11] offset:24 glc
	s_waitcnt vmcnt(0)
	v_cmp_eq_u64_e32 vcc, v[12:13], v[14:15]
	v_mov_b32_e32 v15, v13
	s_or_b64 s[12:13], vcc, s[12:13]
	v_mov_b32_e32 v14, v12
	s_andn2_b64 exec, exec, s[12:13]
	s_cbranch_execnz .LBB0_84
	s_branch .LBB0_2
.LBB0_85:
	s_or_b64 exec, exec, s[6:7]
	s_branch .LBB0_113
.LBB0_86:
	s_load_dwordx2 s[6:7], s[8:9], 0x50
	v_mbcnt_hi_u32_b32 v3, -1, v37
	v_readfirstlane_b32 s4, v3
	v_mov_b32_e32 v8, 0
	v_mov_b32_e32 v9, 0
	v_cmp_eq_u32_e64 s[4:5], s4, v3
	s_and_saveexec_b64 s[8:9], s[4:5]
	s_cbranch_execz .LBB0_92
; %bb.87:
	v_mov_b32_e32 v0, 0
	s_waitcnt lgkmcnt(0)
	global_load_dwordx2 v[6:7], v0, s[6:7] offset:24 glc
	s_waitcnt vmcnt(0)
	buffer_wbinvl1_vol
	global_load_dwordx2 v[4:5], v0, s[6:7] offset:40
	global_load_dwordx2 v[8:9], v0, s[6:7]
	s_waitcnt vmcnt(1)
	v_and_b32_e32 v2, v4, v6
	v_and_b32_e32 v4, v5, v7
	v_mul_lo_u32 v4, v4, 24
	v_mul_hi_u32 v5, v2, 24
	v_mul_lo_u32 v2, v2, 24
	v_add_u32_e32 v5, v5, v4
	s_waitcnt vmcnt(0)
	v_add_co_u32_e32 v4, vcc, v8, v2
	v_addc_co_u32_e32 v5, vcc, v9, v5, vcc
	global_load_dwordx2 v[4:5], v[4:5], off glc
	s_waitcnt vmcnt(0)
	global_atomic_cmpswap_x2 v[8:9], v0, v[4:7], s[6:7] offset:24 glc
	s_waitcnt vmcnt(0)
	buffer_wbinvl1_vol
	v_cmp_ne_u64_e32 vcc, v[8:9], v[6:7]
	s_and_saveexec_b64 s[10:11], vcc
	s_cbranch_execz .LBB0_91
; %bb.88:
	s_mov_b64 s[12:13], 0
.LBB0_89:                               ; =>This Inner Loop Header: Depth=1
	s_sleep 1
	global_load_dwordx2 v[4:5], v0, s[6:7] offset:40
	global_load_dwordx2 v[10:11], v0, s[6:7]
	v_mov_b32_e32 v6, v8
	v_mov_b32_e32 v7, v9
	s_waitcnt vmcnt(1)
	v_and_b32_e32 v2, v4, v6
	s_waitcnt vmcnt(0)
	v_mad_u64_u32 v[8:9], s[14:15], v2, 24, v[10:11]
	v_and_b32_e32 v4, v5, v7
	v_mov_b32_e32 v2, v9
	v_mad_u64_u32 v[4:5], s[14:15], v4, 24, v[2:3]
	v_mov_b32_e32 v9, v4
	global_load_dwordx2 v[4:5], v[8:9], off glc
	s_waitcnt vmcnt(0)
	global_atomic_cmpswap_x2 v[8:9], v0, v[4:7], s[6:7] offset:24 glc
	s_waitcnt vmcnt(0)
	buffer_wbinvl1_vol
	v_cmp_eq_u64_e32 vcc, v[8:9], v[6:7]
	s_or_b64 s[12:13], vcc, s[12:13]
	s_andn2_b64 exec, exec, s[12:13]
	s_cbranch_execnz .LBB0_89
; %bb.90:
	s_or_b64 exec, exec, s[12:13]
.LBB0_91:
	s_or_b64 exec, exec, s[10:11]
.LBB0_92:
	s_or_b64 exec, exec, s[8:9]
	v_mov_b32_e32 v2, 0
	s_waitcnt lgkmcnt(0)
	global_load_dwordx2 v[10:11], v2, s[6:7] offset:40
	global_load_dwordx4 v[4:7], v2, s[6:7]
	v_readfirstlane_b32 s9, v9
	v_readfirstlane_b32 s8, v8
	s_mov_b64 s[10:11], exec
	s_waitcnt vmcnt(1)
	v_readfirstlane_b32 s12, v10
	v_readfirstlane_b32 s13, v11
	s_and_b64 s[12:13], s[12:13], s[8:9]
	s_mul_i32 s14, s13, 24
	s_mul_hi_u32 s15, s12, 24
	s_mul_i32 s16, s12, 24
	s_add_i32 s14, s15, s14
	v_mov_b32_e32 v0, s14
	s_waitcnt vmcnt(0)
	v_add_co_u32_e32 v8, vcc, s16, v4
	v_addc_co_u32_e32 v9, vcc, v5, v0, vcc
	s_and_saveexec_b64 s[14:15], s[4:5]
	s_cbranch_execz .LBB0_94
; %bb.93:
	v_mov_b32_e32 v10, s10
	v_mov_b32_e32 v11, s11
	;; [unrolled: 1-line block ×4, first 2 shown]
	global_store_dwordx4 v[8:9], v[10:13], off offset:8
.LBB0_94:
	s_or_b64 exec, exec, s[14:15]
	s_lshl_b64 s[10:11], s[12:13], 12
	v_mov_b32_e32 v0, s11
	v_add_co_u32_e32 v6, vcc, s10, v6
	v_addc_co_u32_e32 v7, vcc, v7, v0, vcc
	s_movk_i32 s10, 0xff1f
	v_and_or_b32 v0, v36, s10, 32
	v_lshlrev_b32_e32 v10, 6, v3
	s_mov_b32 s12, 0
	v_mov_b32_e32 v3, v2
	v_readfirstlane_b32 s10, v6
	v_readfirstlane_b32 s11, v7
	s_mov_b32 s13, s12
	s_mov_b32 s14, s12
	;; [unrolled: 1-line block ×3, first 2 shown]
	s_nop 1
	global_store_dwordx4 v10, v[0:3], s[10:11]
	s_nop 0
	v_mov_b32_e32 v0, s12
	v_mov_b32_e32 v1, s13
	;; [unrolled: 1-line block ×4, first 2 shown]
	global_store_dwordx4 v10, v[0:3], s[10:11] offset:16
	global_store_dwordx4 v10, v[0:3], s[10:11] offset:32
	;; [unrolled: 1-line block ×3, first 2 shown]
	s_and_saveexec_b64 s[10:11], s[4:5]
	s_cbranch_execz .LBB0_102
; %bb.95:
	v_mov_b32_e32 v6, 0
	global_load_dwordx2 v[12:13], v6, s[6:7] offset:32 glc
	global_load_dwordx2 v[0:1], v6, s[6:7] offset:40
	v_mov_b32_e32 v10, s8
	v_mov_b32_e32 v11, s9
	s_waitcnt vmcnt(0)
	v_and_b32_e32 v0, s8, v0
	v_and_b32_e32 v1, s9, v1
	v_mul_lo_u32 v1, v1, 24
	v_mul_hi_u32 v2, v0, 24
	v_mul_lo_u32 v0, v0, 24
	v_add_u32_e32 v1, v2, v1
	v_add_co_u32_e32 v4, vcc, v4, v0
	v_addc_co_u32_e32 v5, vcc, v5, v1, vcc
	global_store_dwordx2 v[4:5], v[12:13], off
	s_waitcnt vmcnt(0)
	global_atomic_cmpswap_x2 v[2:3], v6, v[10:13], s[6:7] offset:32 glc
	s_waitcnt vmcnt(0)
	v_cmp_ne_u64_e32 vcc, v[2:3], v[12:13]
	s_and_saveexec_b64 s[12:13], vcc
	s_cbranch_execz .LBB0_98
; %bb.96:
	s_mov_b64 s[14:15], 0
.LBB0_97:                               ; =>This Inner Loop Header: Depth=1
	s_sleep 1
	global_store_dwordx2 v[4:5], v[2:3], off
	v_mov_b32_e32 v0, s8
	v_mov_b32_e32 v1, s9
	s_waitcnt vmcnt(0)
	global_atomic_cmpswap_x2 v[0:1], v6, v[0:3], s[6:7] offset:32 glc
	s_waitcnt vmcnt(0)
	v_cmp_eq_u64_e32 vcc, v[0:1], v[2:3]
	v_mov_b32_e32 v3, v1
	s_or_b64 s[14:15], vcc, s[14:15]
	v_mov_b32_e32 v2, v0
	s_andn2_b64 exec, exec, s[14:15]
	s_cbranch_execnz .LBB0_97
.LBB0_98:
	s_or_b64 exec, exec, s[12:13]
	v_mov_b32_e32 v3, 0
	global_load_dwordx2 v[0:1], v3, s[6:7] offset:16
	s_mov_b64 s[12:13], exec
	v_mbcnt_lo_u32_b32 v2, s12, 0
	v_mbcnt_hi_u32_b32 v2, s13, v2
	v_cmp_eq_u32_e32 vcc, 0, v2
	s_and_saveexec_b64 s[14:15], vcc
	s_cbranch_execz .LBB0_100
; %bb.99:
	s_bcnt1_i32_b64 s12, s[12:13]
	v_mov_b32_e32 v2, s12
	s_waitcnt vmcnt(0)
	global_atomic_add_x2 v[0:1], v[2:3], off offset:8
.LBB0_100:
	s_or_b64 exec, exec, s[14:15]
	s_waitcnt vmcnt(0)
	global_load_dwordx2 v[2:3], v[0:1], off offset:16
	s_waitcnt vmcnt(0)
	v_cmp_eq_u64_e32 vcc, 0, v[2:3]
	s_cbranch_vccnz .LBB0_102
; %bb.101:
	global_load_dword v0, v[0:1], off offset:24
	v_mov_b32_e32 v1, 0
	s_waitcnt vmcnt(0)
	v_readfirstlane_b32 s12, v0
	s_and_b32 m0, s12, 0xffffff
	global_store_dwordx2 v[2:3], v[0:1], off
	s_sendmsg sendmsg(MSG_INTERRUPT)
.LBB0_102:
	s_or_b64 exec, exec, s[10:11]
	s_branch .LBB0_106
.LBB0_103:                              ;   in Loop: Header=BB0_106 Depth=1
	s_or_b64 exec, exec, s[10:11]
	v_readfirstlane_b32 s10, v0
	s_cmp_eq_u32 s10, 0
	s_cbranch_scc1 .LBB0_105
; %bb.104:                              ;   in Loop: Header=BB0_106 Depth=1
	s_sleep 1
	s_cbranch_execnz .LBB0_106
	s_branch .LBB0_108
.LBB0_105:
	s_branch .LBB0_108
.LBB0_106:                              ; =>This Inner Loop Header: Depth=1
	v_mov_b32_e32 v0, 1
	s_and_saveexec_b64 s[10:11], s[4:5]
	s_cbranch_execz .LBB0_103
; %bb.107:                              ;   in Loop: Header=BB0_106 Depth=1
	global_load_dword v0, v[8:9], off offset:20 glc
	s_waitcnt vmcnt(0)
	buffer_wbinvl1_vol
	v_and_b32_e32 v0, 1, v0
	s_branch .LBB0_103
.LBB0_108:
	s_and_saveexec_b64 s[10:11], s[4:5]
	s_cbranch_execz .LBB0_111
; %bb.109:
	v_mov_b32_e32 v6, 0
	global_load_dwordx2 v[0:1], v6, s[6:7] offset:40
	global_load_dwordx2 v[9:10], v6, s[6:7] offset:24 glc
	global_load_dwordx2 v[2:3], v6, s[6:7]
	s_waitcnt vmcnt(2)
	v_readfirstlane_b32 s12, v0
	v_readfirstlane_b32 s13, v1
	s_add_u32 s14, s12, 1
	s_addc_u32 s15, s13, 0
	s_add_u32 s4, s14, s8
	s_addc_u32 s5, s15, s9
	s_cmp_eq_u64 s[4:5], 0
	s_cselect_b32 s5, s15, s5
	s_cselect_b32 s4, s14, s4
	s_and_b64 s[8:9], s[4:5], s[12:13]
	s_mul_i32 s9, s9, 24
	s_mul_hi_u32 s12, s8, 24
	s_mul_i32 s8, s8, 24
	s_add_i32 s9, s12, s9
	v_mov_b32_e32 v0, s9
	s_waitcnt vmcnt(0)
	v_add_co_u32_e32 v4, vcc, s8, v2
	v_addc_co_u32_e32 v5, vcc, v3, v0, vcc
	v_mov_b32_e32 v7, s4
	global_store_dwordx2 v[4:5], v[9:10], off
	v_mov_b32_e32 v8, s5
	s_waitcnt vmcnt(0)
	global_atomic_cmpswap_x2 v[2:3], v6, v[7:10], s[6:7] offset:24 glc
	s_mov_b64 s[8:9], 0
	s_waitcnt vmcnt(0)
	v_cmp_ne_u64_e32 vcc, v[2:3], v[9:10]
	s_and_b64 exec, exec, vcc
	s_cbranch_execz .LBB0_111
.LBB0_110:                              ; =>This Inner Loop Header: Depth=1
	s_sleep 1
	global_store_dwordx2 v[4:5], v[2:3], off
	v_mov_b32_e32 v0, s4
	v_mov_b32_e32 v1, s5
	s_waitcnt vmcnt(0)
	global_atomic_cmpswap_x2 v[0:1], v6, v[0:3], s[6:7] offset:24 glc
	s_waitcnt vmcnt(0)
	v_cmp_eq_u64_e32 vcc, v[0:1], v[2:3]
	v_mov_b32_e32 v3, v1
	s_or_b64 s[8:9], vcc, s[8:9]
	v_mov_b32_e32 v2, v0
	s_andn2_b64 exec, exec, s[8:9]
	s_cbranch_execnz .LBB0_110
.LBB0_111:
	s_or_b64 exec, exec, s[10:11]
	s_waitcnt vmcnt(0) lgkmcnt(0)
	s_setpc_b64 s[30:31]
.LBB0_112:
	s_cbranch_execnz .LBB0_86
.LBB0_113:
	s_waitcnt vmcnt(0) lgkmcnt(0)
	s_setpc_b64 s[30:31]
.Lfunc_end0:
	.size	__ockl_fprintf_append_string_n, .Lfunc_end0-__ockl_fprintf_append_string_n
                                        ; -- End function
	.set .L__ockl_fprintf_append_string_n.num_vgpr, 40
	.set .L__ockl_fprintf_append_string_n.num_agpr, 0
	.set .L__ockl_fprintf_append_string_n.numbered_sgpr, 32
	.set .L__ockl_fprintf_append_string_n.num_named_barrier, 0
	.set .L__ockl_fprintf_append_string_n.private_seg_size, 0
	.set .L__ockl_fprintf_append_string_n.uses_vcc, 1
	.set .L__ockl_fprintf_append_string_n.uses_flat_scratch, 0
	.set .L__ockl_fprintf_append_string_n.has_dyn_sized_stack, 0
	.set .L__ockl_fprintf_append_string_n.has_recursion, 0
	.set .L__ockl_fprintf_append_string_n.has_indirect_call, 0
	.section	.AMDGPU.csdata,"",@progbits
; Function info:
; codeLenInByte = 3900
; TotalNumSgprs: 36
; NumVgprs: 40
; ScratchSize: 0
; MemoryBound: 0
	.text
	.p2align	2                               ; -- Begin function __assert_fail
	.type	__assert_fail,@function
__assert_fail:                          ; @__assert_fail
; %bb.0:
	s_waitcnt vmcnt(0) expcnt(0) lgkmcnt(0)
	s_mov_b32 s25, s33
	s_mov_b32 s33, s32
	s_or_saveexec_b64 s[4:5], -1
	buffer_store_dword v40, off, s[0:3], s33 offset:48 ; 4-byte Folded Spill
	s_mov_b64 exec, s[4:5]
	v_writelane_b32 v40, s30, 0
	s_addk_i32 s32, 0x1000
	v_writelane_b32 v40, s31, 1
	v_mov_b32_e32 v8, 0
	s_getpc_b64 s[4:5]
	s_add_u32 s4, s4, __const.__assert_fail.fmt@rel32@lo+35
	s_addc_u32 s5, s5, __const.__assert_fail.fmt@rel32@hi+43
	v_mov_b32_e32 v5, v1
	v_mov_b32_e32 v4, v0
	global_load_dwordx4 v[0:3], v8, s[4:5]
	s_getpc_b64 s[16:17]
	s_add_u32 s16, s16, __const.__assert_fail.fmt@rel32@lo+4
	s_addc_u32 s17, s17, __const.__assert_fail.fmt@rel32@hi+12
	s_getpc_b64 s[18:19]
	s_add_u32 s18, s18, __const.__assert_fail.fmt@rel32@lo+20
	s_addc_u32 s19, s19, __const.__assert_fail.fmt@rel32@hi+28
	v_mbcnt_lo_u32_b32 v9, -1, 0
	s_load_dwordx4 s[4:7], s[16:17], 0x0
	s_load_dwordx4 s[12:15], s[18:19], 0x0
	s_load_dwordx2 s[10:11], s[8:9], 0x50
	v_mbcnt_hi_u32_b32 v34, -1, v9
	v_mov_b32_e32 v6, 0
	v_readfirstlane_b32 s16, v34
	v_mov_b32_e32 v7, 0
	s_waitcnt lgkmcnt(0)
	v_mov_b32_e32 v9, s7
	v_mov_b32_e32 v11, s5
	;; [unrolled: 1-line block ×3, first 2 shown]
	v_cmp_eq_u32_e64 s[4:5], s16, v34
	v_mov_b32_e32 v10, s6
	v_mov_b32_e32 v13, s15
	;; [unrolled: 1-line block ×5, first 2 shown]
	buffer_store_dword v9, off, s[0:3], s33 offset:12
	buffer_store_dword v10, off, s[0:3], s33 offset:8
	buffer_store_dword v11, off, s[0:3], s33 offset:4
	buffer_store_dword v12, off, s[0:3], s33
	buffer_store_dword v13, off, s[0:3], s33 offset:28
	buffer_store_dword v14, off, s[0:3], s33 offset:24
	;; [unrolled: 1-line block ×4, first 2 shown]
	s_waitcnt vmcnt(8)
	buffer_store_dword v3, off, s[0:3], s33 offset:43
	buffer_store_dword v2, off, s[0:3], s33 offset:39
	;; [unrolled: 1-line block ×4, first 2 shown]
	s_and_saveexec_b64 s[6:7], s[4:5]
	s_cbranch_execz .LBB1_6
; %bb.1:
	global_load_dwordx2 v[2:3], v8, s[10:11] offset:24 glc
	s_waitcnt vmcnt(0)
	buffer_wbinvl1_vol
	global_load_dwordx2 v[0:1], v8, s[10:11] offset:40
	global_load_dwordx2 v[6:7], v8, s[10:11]
	s_waitcnt vmcnt(1)
	v_and_b32_e32 v0, v0, v2
	v_and_b32_e32 v1, v1, v3
	v_mul_lo_u32 v1, v1, 24
	v_mul_hi_u32 v9, v0, 24
	v_mul_lo_u32 v0, v0, 24
	v_add_u32_e32 v1, v9, v1
	s_waitcnt vmcnt(0)
	v_add_co_u32_e32 v0, vcc, v6, v0
	v_addc_co_u32_e32 v1, vcc, v7, v1, vcc
	global_load_dwordx2 v[0:1], v[0:1], off glc
	s_waitcnt vmcnt(0)
	global_atomic_cmpswap_x2 v[6:7], v8, v[0:3], s[10:11] offset:24 glc
	s_waitcnt vmcnt(0)
	buffer_wbinvl1_vol
	v_cmp_ne_u64_e32 vcc, v[6:7], v[2:3]
	s_and_saveexec_b64 s[12:13], vcc
	s_cbranch_execz .LBB1_5
; %bb.2:
	s_mov_b64 s[14:15], 0
	v_mov_b32_e32 v0, 0
.LBB1_3:                                ; =>This Inner Loop Header: Depth=1
	s_sleep 1
	global_load_dwordx2 v[1:2], v0, s[10:11] offset:40
	global_load_dwordx2 v[9:10], v0, s[10:11]
	v_mov_b32_e32 v12, v7
	v_mov_b32_e32 v11, v6
	s_waitcnt vmcnt(1)
	v_and_b32_e32 v1, v1, v11
	s_waitcnt vmcnt(0)
	v_mad_u64_u32 v[6:7], s[16:17], v1, 24, v[9:10]
	v_and_b32_e32 v2, v2, v12
	v_mov_b32_e32 v1, v7
	v_mad_u64_u32 v[1:2], s[16:17], v2, 24, v[1:2]
	v_mov_b32_e32 v7, v1
	global_load_dwordx2 v[9:10], v[6:7], off glc
	s_waitcnt vmcnt(0)
	global_atomic_cmpswap_x2 v[6:7], v0, v[9:12], s[10:11] offset:24 glc
	s_waitcnt vmcnt(0)
	buffer_wbinvl1_vol
	v_cmp_eq_u64_e32 vcc, v[6:7], v[11:12]
	s_or_b64 s[14:15], vcc, s[14:15]
	s_andn2_b64 exec, exec, s[14:15]
	s_cbranch_execnz .LBB1_3
; %bb.4:
	s_or_b64 exec, exec, s[14:15]
.LBB1_5:
	s_or_b64 exec, exec, s[12:13]
.LBB1_6:
	s_or_b64 exec, exec, s[6:7]
	global_load_dwordx2 v[9:10], v8, s[10:11] offset:40
	global_load_dwordx4 v[0:3], v8, s[10:11]
	v_readfirstlane_b32 s7, v7
	v_readfirstlane_b32 s6, v6
	s_mov_b64 s[12:13], exec
	s_waitcnt vmcnt(1)
	v_readfirstlane_b32 s14, v9
	v_readfirstlane_b32 s15, v10
	s_and_b64 s[14:15], s[14:15], s[6:7]
	s_mul_i32 s16, s15, 24
	s_mul_hi_u32 s17, s14, 24
	s_mul_i32 s18, s14, 24
	s_add_i32 s16, s17, s16
	v_mov_b32_e32 v6, s16
	s_waitcnt vmcnt(0)
	v_add_co_u32_e32 v10, vcc, s18, v0
	v_addc_co_u32_e32 v11, vcc, v1, v6, vcc
	s_and_saveexec_b64 s[16:17], s[4:5]
	s_cbranch_execz .LBB1_8
; %bb.7:
	v_mov_b32_e32 v6, s12
	v_mov_b32_e32 v7, s13
	;; [unrolled: 1-line block ×4, first 2 shown]
	global_store_dwordx4 v[10:11], v[6:9], off offset:8
.LBB1_8:
	s_or_b64 exec, exec, s[16:17]
	s_lshl_b64 s[12:13], s[14:15], 12
	v_mov_b32_e32 v6, s13
	v_add_co_u32_e32 v2, vcc, s12, v2
	s_mov_b32 s12, 0
	v_addc_co_u32_e32 v3, vcc, v3, v6, vcc
	v_lshlrev_b32_e32 v35, 6, v34
	s_mov_b32 s15, s12
	v_mov_b32_e32 v7, 0
	v_add_co_u32_e32 v12, vcc, v2, v35
	s_mov_b32 s13, s12
	s_mov_b32 s14, s12
	v_mov_b32_e32 v17, s15
	v_addc_co_u32_e32 v13, vcc, 0, v3, vcc
	v_mov_b32_e32 v6, 33
	v_mov_b32_e32 v8, 1
	;; [unrolled: 1-line block ×3, first 2 shown]
	v_readfirstlane_b32 s16, v2
	v_readfirstlane_b32 s17, v3
	v_mov_b32_e32 v16, s14
	v_mov_b32_e32 v15, s13
	;; [unrolled: 1-line block ×3, first 2 shown]
	s_nop 1
	global_store_dwordx4 v35, v[6:9], s[16:17]
	global_store_dwordx4 v35, v[14:17], s[16:17] offset:16
	global_store_dwordx4 v35, v[14:17], s[16:17] offset:32
	;; [unrolled: 1-line block ×3, first 2 shown]
	s_and_saveexec_b64 s[12:13], s[4:5]
	s_cbranch_execz .LBB1_16
; %bb.9:
	global_load_dwordx2 v[16:17], v7, s[10:11] offset:32 glc
	global_load_dwordx2 v[2:3], v7, s[10:11] offset:40
	v_mov_b32_e32 v14, s6
	v_mov_b32_e32 v15, s7
	s_waitcnt vmcnt(0)
	v_and_b32_e32 v2, s6, v2
	v_and_b32_e32 v3, s7, v3
	v_mul_lo_u32 v3, v3, 24
	v_mul_hi_u32 v6, v2, 24
	v_mul_lo_u32 v2, v2, 24
	v_add_u32_e32 v3, v6, v3
	v_add_co_u32_e32 v8, vcc, v0, v2
	v_addc_co_u32_e32 v9, vcc, v1, v3, vcc
	global_store_dwordx2 v[8:9], v[16:17], off
	s_waitcnt vmcnt(0)
	global_atomic_cmpswap_x2 v[2:3], v7, v[14:17], s[10:11] offset:32 glc
	s_waitcnt vmcnt(0)
	v_cmp_ne_u64_e32 vcc, v[2:3], v[16:17]
	s_and_saveexec_b64 s[14:15], vcc
	s_cbranch_execz .LBB1_12
; %bb.10:
	s_mov_b64 s[16:17], 0
	v_mov_b32_e32 v6, 0
.LBB1_11:                               ; =>This Inner Loop Header: Depth=1
	s_sleep 1
	global_store_dwordx2 v[8:9], v[2:3], off
	v_mov_b32_e32 v0, s6
	v_mov_b32_e32 v1, s7
	s_waitcnt vmcnt(0)
	global_atomic_cmpswap_x2 v[0:1], v6, v[0:3], s[10:11] offset:32 glc
	s_waitcnt vmcnt(0)
	v_cmp_eq_u64_e32 vcc, v[0:1], v[2:3]
	v_mov_b32_e32 v3, v1
	s_or_b64 s[16:17], vcc, s[16:17]
	v_mov_b32_e32 v2, v0
	s_andn2_b64 exec, exec, s[16:17]
	s_cbranch_execnz .LBB1_11
.LBB1_12:
	s_or_b64 exec, exec, s[14:15]
	v_mov_b32_e32 v3, 0
	global_load_dwordx2 v[0:1], v3, s[10:11] offset:16
	s_mov_b64 s[14:15], exec
	v_mbcnt_lo_u32_b32 v2, s14, 0
	v_mbcnt_hi_u32_b32 v2, s15, v2
	v_cmp_eq_u32_e32 vcc, 0, v2
	s_and_saveexec_b64 s[16:17], vcc
	s_cbranch_execz .LBB1_14
; %bb.13:
	s_bcnt1_i32_b64 s14, s[14:15]
	v_mov_b32_e32 v2, s14
	s_waitcnt vmcnt(0)
	global_atomic_add_x2 v[0:1], v[2:3], off offset:8
.LBB1_14:
	s_or_b64 exec, exec, s[16:17]
	s_waitcnt vmcnt(0)
	global_load_dwordx2 v[2:3], v[0:1], off offset:16
	s_waitcnt vmcnt(0)
	v_cmp_eq_u64_e32 vcc, 0, v[2:3]
	s_cbranch_vccnz .LBB1_16
; %bb.15:
	global_load_dword v0, v[0:1], off offset:24
	v_mov_b32_e32 v1, 0
	s_waitcnt vmcnt(0)
	v_readfirstlane_b32 s14, v0
	s_and_b32 m0, s14, 0xffffff
	global_store_dwordx2 v[2:3], v[0:1], off
	s_sendmsg sendmsg(MSG_INTERRUPT)
.LBB1_16:
	s_or_b64 exec, exec, s[12:13]
	s_branch .LBB1_20
.LBB1_17:                               ;   in Loop: Header=BB1_20 Depth=1
	s_or_b64 exec, exec, s[12:13]
	v_readfirstlane_b32 s12, v0
	s_cmp_eq_u32 s12, 0
	s_cbranch_scc1 .LBB1_19
; %bb.18:                               ;   in Loop: Header=BB1_20 Depth=1
	s_sleep 1
	s_cbranch_execnz .LBB1_20
	s_branch .LBB1_22
.LBB1_19:
	s_branch .LBB1_22
.LBB1_20:                               ; =>This Inner Loop Header: Depth=1
	v_mov_b32_e32 v0, 1
	s_and_saveexec_b64 s[12:13], s[4:5]
	s_cbranch_execz .LBB1_17
; %bb.21:                               ;   in Loop: Header=BB1_20 Depth=1
	global_load_dword v0, v[10:11], off offset:20 glc
	s_waitcnt vmcnt(0)
	buffer_wbinvl1_vol
	v_and_b32_e32 v0, 1, v0
	s_branch .LBB1_17
.LBB1_22:
	global_load_dwordx2 v[6:7], v[12:13], off
	s_and_saveexec_b64 s[12:13], s[4:5]
	s_cbranch_execz .LBB1_25
; %bb.23:
	v_mov_b32_e32 v10, 0
	global_load_dwordx2 v[0:1], v10, s[10:11] offset:40
	global_load_dwordx2 v[13:14], v10, s[10:11] offset:24 glc
	global_load_dwordx2 v[2:3], v10, s[10:11]
	s_waitcnt vmcnt(2)
	v_readfirstlane_b32 s14, v0
	v_readfirstlane_b32 s15, v1
	s_add_u32 s16, s14, 1
	s_addc_u32 s17, s15, 0
	s_add_u32 s4, s16, s6
	s_addc_u32 s5, s17, s7
	s_cmp_eq_u64 s[4:5], 0
	s_cselect_b32 s5, s17, s5
	s_cselect_b32 s4, s16, s4
	s_and_b64 s[6:7], s[4:5], s[14:15]
	s_mul_i32 s7, s7, 24
	s_mul_hi_u32 s14, s6, 24
	s_mul_i32 s6, s6, 24
	s_add_i32 s7, s14, s7
	v_mov_b32_e32 v0, s7
	s_waitcnt vmcnt(0)
	v_add_co_u32_e32 v8, vcc, s6, v2
	v_addc_co_u32_e32 v9, vcc, v3, v0, vcc
	v_mov_b32_e32 v11, s4
	global_store_dwordx2 v[8:9], v[13:14], off
	v_mov_b32_e32 v12, s5
	s_waitcnt vmcnt(0)
	global_atomic_cmpswap_x2 v[2:3], v10, v[11:14], s[10:11] offset:24 glc
	s_mov_b64 s[6:7], 0
	s_waitcnt vmcnt(0)
	v_cmp_ne_u64_e32 vcc, v[2:3], v[13:14]
	s_and_b64 exec, exec, vcc
	s_cbranch_execz .LBB1_25
.LBB1_24:                               ; =>This Inner Loop Header: Depth=1
	s_sleep 1
	global_store_dwordx2 v[8:9], v[2:3], off
	v_mov_b32_e32 v0, s4
	v_mov_b32_e32 v1, s5
	s_waitcnt vmcnt(0)
	global_atomic_cmpswap_x2 v[0:1], v10, v[0:3], s[10:11] offset:24 glc
	s_waitcnt vmcnt(0)
	v_cmp_eq_u64_e32 vcc, v[0:1], v[2:3]
	v_mov_b32_e32 v3, v1
	s_or_b64 s[6:7], vcc, s[6:7]
	v_mov_b32_e32 v2, v0
	s_andn2_b64 exec, exec, s[6:7]
	s_cbranch_execnz .LBB1_24
.LBB1_25:
	s_or_b64 exec, exec, s[12:13]
	s_lshr_b32 s6, s33, 6
	s_mov_b64 s[4:5], 0
.LBB1_26:                               ; =>This Inner Loop Header: Depth=1
	v_mov_b32_e32 v0, s6
	buffer_load_ubyte v1, v0, s[0:3], 0 offen
	s_add_i32 s6, s6, 1
	v_mov_b32_e32 v0, s6
	s_waitcnt vmcnt(0)
	v_cmp_eq_u16_e32 vcc, 0, v1
	s_or_b64 s[4:5], vcc, s[4:5]
	s_andn2_b64 exec, exec, s[4:5]
	s_cbranch_execnz .LBB1_26
; %bb.27:
	s_or_b64 exec, exec, s[4:5]
	s_lshr_b32 s4, s33, 6
	s_cmp_lg_u32 s4, -1
	s_cbranch_scc0 .LBB1_112
; %bb.28:
	v_lshrrev_b32_e64 v1, 6, s33
	v_subrev_u32_e32 v28, v1, v0
	v_ashrrev_i32_e32 v29, 31, v28
	v_and_b32_e32 v36, 2, v6
	v_mov_b32_e32 v31, 0
	v_and_b32_e32 v0, -3, v6
	v_mov_b32_e32 v1, v7
	s_mov_b64 s[12:13], 0
	v_lshrrev_b32_e64 v37, 6, s33
	s_mov_b32 s20, 0
	s_movk_i32 s21, 0x1e0
	v_mov_b32_e32 v10, 2
	v_mov_b32_e32 v11, 1
	s_branch .LBB1_30
.LBB1_29:                               ;   in Loop: Header=BB1_30 Depth=1
	s_or_b64 exec, exec, s[6:7]
	v_sub_co_u32_e32 v28, vcc, v28, v38
	v_subb_co_u32_e32 v29, vcc, v29, v39, vcc
	v_cmp_eq_u64_e32 vcc, 0, v[28:29]
	v_add_u32_e32 v37, v37, v38
	s_or_b64 s[12:13], vcc, s[12:13]
	s_andn2_b64 exec, exec, s[12:13]
	s_cbranch_execz .LBB1_113
.LBB1_30:                               ; =>This Loop Header: Depth=1
                                        ;     Child Loop BB1_33 Depth 2
                                        ;     Child Loop BB1_41 Depth 2
	;; [unrolled: 1-line block ×11, first 2 shown]
	v_cmp_gt_u64_e32 vcc, 56, v[28:29]
	v_cmp_gt_u64_e64 s[4:5], 8, v[28:29]
	v_cndmask_b32_e32 v38, 56, v28, vcc
	v_add_u32_e32 v9, 8, v37
	s_and_saveexec_b64 s[6:7], s[4:5]
	s_xor_b64 s[6:7], exec, s[6:7]
	s_cbranch_execz .LBB1_36
; %bb.31:                               ;   in Loop: Header=BB1_30 Depth=1
	v_mov_b32_e32 v2, 0
	v_cmp_ne_u64_e64 s[4:5], 0, v[28:29]
	v_mov_b32_e32 v3, 0
	s_and_saveexec_b64 s[14:15], s[4:5]
	s_cbranch_execz .LBB1_35
; %bb.32:                               ;   in Loop: Header=BB1_30 Depth=1
	v_mov_b32_e32 v2, 0
	s_mov_b32 s22, 0
	s_mov_b64 s[16:17], 0
	v_mov_b32_e32 v3, 0
	s_mov_b64 s[18:19], 0
.LBB1_33:                               ;   Parent Loop BB1_30 Depth=1
                                        ; =>  This Inner Loop Header: Depth=2
	v_add_u32_e32 v8, s22, v37
	buffer_load_ubyte v8, v8, s[0:3], 0 offen
	v_mov_b32_e32 v9, s20
	s_add_i32 s22, s22, 1
	v_cmp_eq_u32_e64 s[4:5], s22, v38
	s_waitcnt vmcnt(0)
	v_and_b32_e32 v8, 0xffff, v8
	v_lshlrev_b64 v[8:9], s18, v[8:9]
	s_add_u32 s18, s18, 8
	s_addc_u32 s19, s19, 0
	v_or_b32_e32 v3, v9, v3
	s_or_b64 s[16:17], s[4:5], s[16:17]
	v_or_b32_e32 v2, v8, v2
	s_andn2_b64 exec, exec, s[16:17]
	s_cbranch_execnz .LBB1_33
; %bb.34:                               ;   in Loop: Header=BB1_30 Depth=1
	s_or_b64 exec, exec, s[16:17]
.LBB1_35:                               ;   in Loop: Header=BB1_30 Depth=1
	s_or_b64 exec, exec, s[14:15]
	v_mov_b32_e32 v9, v37
.LBB1_36:                               ;   in Loop: Header=BB1_30 Depth=1
	s_or_saveexec_b64 s[4:5], s[6:7]
	v_mov_b32_e32 v14, 0
	s_xor_b64 exec, exec, s[4:5]
	s_cbranch_execz .LBB1_38
; %bb.37:                               ;   in Loop: Header=BB1_30 Depth=1
	buffer_load_dword v2, v37, s[0:3], 0 offen
	buffer_load_dword v3, v37, s[0:3], 0 offen offset:4
	v_add_u32_e32 v14, -8, v38
.LBB1_38:                               ;   in Loop: Header=BB1_30 Depth=1
	s_or_b64 exec, exec, s[4:5]
	v_cmp_gt_u32_e64 s[4:5], 8, v14
	v_add_u32_e32 v8, 8, v9
                                        ; implicit-def: $vgpr12_vgpr13
	s_and_saveexec_b64 s[6:7], s[4:5]
	s_xor_b64 s[6:7], exec, s[6:7]
	s_cbranch_execz .LBB1_44
; %bb.39:                               ;   in Loop: Header=BB1_30 Depth=1
	v_mov_b32_e32 v12, 0
	v_mov_b32_e32 v13, 0
	v_cmp_ne_u32_e64 s[4:5], 0, v14
	s_and_saveexec_b64 s[14:15], s[4:5]
	s_cbranch_execz .LBB1_43
; %bb.40:                               ;   in Loop: Header=BB1_30 Depth=1
	v_mov_b32_e32 v12, 0
	s_mov_b32 s22, 0
	s_mov_b64 s[16:17], 0
	v_mov_b32_e32 v13, 0
	s_mov_b64 s[18:19], 0
.LBB1_41:                               ;   Parent Loop BB1_30 Depth=1
                                        ; =>  This Inner Loop Header: Depth=2
	v_add_u32_e32 v8, s22, v9
	buffer_load_ubyte v8, v8, s[0:3], 0 offen
	v_mov_b32_e32 v16, s20
	s_add_i32 s22, s22, 1
	v_cmp_eq_u32_e64 s[4:5], s22, v14
	s_waitcnt vmcnt(0)
	v_and_b32_e32 v15, 0xffff, v8
	v_lshlrev_b64 v[15:16], s18, v[15:16]
	s_add_u32 s18, s18, 8
	s_addc_u32 s19, s19, 0
	v_or_b32_e32 v13, v16, v13
	s_or_b64 s[16:17], s[4:5], s[16:17]
	v_or_b32_e32 v12, v15, v12
	s_andn2_b64 exec, exec, s[16:17]
	s_cbranch_execnz .LBB1_41
; %bb.42:                               ;   in Loop: Header=BB1_30 Depth=1
	s_or_b64 exec, exec, s[16:17]
.LBB1_43:                               ;   in Loop: Header=BB1_30 Depth=1
	s_or_b64 exec, exec, s[14:15]
	v_mov_b32_e32 v8, v9
                                        ; implicit-def: $vgpr14
.LBB1_44:                               ;   in Loop: Header=BB1_30 Depth=1
	s_or_saveexec_b64 s[4:5], s[6:7]
	v_mov_b32_e32 v16, 0
	s_xor_b64 exec, exec, s[4:5]
	s_cbranch_execz .LBB1_46
; %bb.45:                               ;   in Loop: Header=BB1_30 Depth=1
	buffer_load_dword v12, v9, s[0:3], 0 offen
	buffer_load_dword v13, v9, s[0:3], 0 offen offset:4
	v_add_u32_e32 v16, -8, v14
.LBB1_46:                               ;   in Loop: Header=BB1_30 Depth=1
	s_or_b64 exec, exec, s[4:5]
	v_cmp_gt_u32_e64 s[4:5], 8, v16
	v_add_u32_e32 v9, 8, v8
	s_and_saveexec_b64 s[6:7], s[4:5]
	s_xor_b64 s[6:7], exec, s[6:7]
	s_cbranch_execz .LBB1_52
; %bb.47:                               ;   in Loop: Header=BB1_30 Depth=1
	v_mov_b32_e32 v14, 0
	v_mov_b32_e32 v15, 0
	v_cmp_ne_u32_e64 s[4:5], 0, v16
	s_and_saveexec_b64 s[14:15], s[4:5]
	s_cbranch_execz .LBB1_51
; %bb.48:                               ;   in Loop: Header=BB1_30 Depth=1
	v_mov_b32_e32 v14, 0
	s_mov_b32 s22, 0
	s_mov_b64 s[16:17], 0
	v_mov_b32_e32 v15, 0
	s_mov_b64 s[18:19], 0
.LBB1_49:                               ;   Parent Loop BB1_30 Depth=1
                                        ; =>  This Inner Loop Header: Depth=2
	v_add_u32_e32 v9, s22, v8
	buffer_load_ubyte v9, v9, s[0:3], 0 offen
	v_mov_b32_e32 v18, s20
	s_add_i32 s22, s22, 1
	v_cmp_eq_u32_e64 s[4:5], s22, v16
	s_waitcnt vmcnt(0)
	v_and_b32_e32 v17, 0xffff, v9
	v_lshlrev_b64 v[17:18], s18, v[17:18]
	s_add_u32 s18, s18, 8
	s_addc_u32 s19, s19, 0
	v_or_b32_e32 v15, v18, v15
	s_or_b64 s[16:17], s[4:5], s[16:17]
	v_or_b32_e32 v14, v17, v14
	s_andn2_b64 exec, exec, s[16:17]
	s_cbranch_execnz .LBB1_49
; %bb.50:                               ;   in Loop: Header=BB1_30 Depth=1
	s_or_b64 exec, exec, s[16:17]
.LBB1_51:                               ;   in Loop: Header=BB1_30 Depth=1
	s_or_b64 exec, exec, s[14:15]
	v_mov_b32_e32 v9, v8
                                        ; implicit-def: $vgpr16
.LBB1_52:                               ;   in Loop: Header=BB1_30 Depth=1
	s_or_saveexec_b64 s[4:5], s[6:7]
	v_mov_b32_e32 v18, 0
	s_xor_b64 exec, exec, s[4:5]
	s_cbranch_execz .LBB1_54
; %bb.53:                               ;   in Loop: Header=BB1_30 Depth=1
	buffer_load_dword v14, v8, s[0:3], 0 offen
	buffer_load_dword v15, v8, s[0:3], 0 offen offset:4
	v_add_u32_e32 v18, -8, v16
.LBB1_54:                               ;   in Loop: Header=BB1_30 Depth=1
	s_or_b64 exec, exec, s[4:5]
	v_cmp_gt_u32_e64 s[4:5], 8, v18
	v_add_u32_e32 v8, 8, v9
                                        ; implicit-def: $vgpr16_vgpr17
	s_and_saveexec_b64 s[6:7], s[4:5]
	s_xor_b64 s[6:7], exec, s[6:7]
	s_cbranch_execz .LBB1_60
; %bb.55:                               ;   in Loop: Header=BB1_30 Depth=1
	v_mov_b32_e32 v16, 0
	v_mov_b32_e32 v17, 0
	v_cmp_ne_u32_e64 s[4:5], 0, v18
	s_and_saveexec_b64 s[14:15], s[4:5]
	s_cbranch_execz .LBB1_59
; %bb.56:                               ;   in Loop: Header=BB1_30 Depth=1
	v_mov_b32_e32 v16, 0
	s_mov_b32 s22, 0
	s_mov_b64 s[16:17], 0
	v_mov_b32_e32 v17, 0
	s_mov_b64 s[18:19], 0
.LBB1_57:                               ;   Parent Loop BB1_30 Depth=1
                                        ; =>  This Inner Loop Header: Depth=2
	v_add_u32_e32 v8, s22, v9
	buffer_load_ubyte v8, v8, s[0:3], 0 offen
	v_mov_b32_e32 v20, s20
	s_add_i32 s22, s22, 1
	v_cmp_eq_u32_e64 s[4:5], s22, v18
	s_waitcnt vmcnt(0)
	v_and_b32_e32 v19, 0xffff, v8
	v_lshlrev_b64 v[19:20], s18, v[19:20]
	s_add_u32 s18, s18, 8
	s_addc_u32 s19, s19, 0
	v_or_b32_e32 v17, v20, v17
	s_or_b64 s[16:17], s[4:5], s[16:17]
	v_or_b32_e32 v16, v19, v16
	s_andn2_b64 exec, exec, s[16:17]
	s_cbranch_execnz .LBB1_57
; %bb.58:                               ;   in Loop: Header=BB1_30 Depth=1
	s_or_b64 exec, exec, s[16:17]
.LBB1_59:                               ;   in Loop: Header=BB1_30 Depth=1
	s_or_b64 exec, exec, s[14:15]
	v_mov_b32_e32 v8, v9
                                        ; implicit-def: $vgpr18
.LBB1_60:                               ;   in Loop: Header=BB1_30 Depth=1
	s_or_saveexec_b64 s[4:5], s[6:7]
	v_mov_b32_e32 v20, 0
	s_xor_b64 exec, exec, s[4:5]
	s_cbranch_execz .LBB1_62
; %bb.61:                               ;   in Loop: Header=BB1_30 Depth=1
	buffer_load_dword v16, v9, s[0:3], 0 offen
	buffer_load_dword v17, v9, s[0:3], 0 offen offset:4
	v_add_u32_e32 v20, -8, v18
.LBB1_62:                               ;   in Loop: Header=BB1_30 Depth=1
	s_or_b64 exec, exec, s[4:5]
	v_cmp_gt_u32_e64 s[4:5], 8, v20
	v_add_u32_e32 v9, 8, v8
	s_and_saveexec_b64 s[6:7], s[4:5]
	s_xor_b64 s[6:7], exec, s[6:7]
	s_cbranch_execz .LBB1_68
; %bb.63:                               ;   in Loop: Header=BB1_30 Depth=1
	v_mov_b32_e32 v18, 0
	v_mov_b32_e32 v19, 0
	v_cmp_ne_u32_e64 s[4:5], 0, v20
	s_and_saveexec_b64 s[14:15], s[4:5]
	s_cbranch_execz .LBB1_67
; %bb.64:                               ;   in Loop: Header=BB1_30 Depth=1
	v_mov_b32_e32 v18, 0
	s_mov_b32 s22, 0
	s_mov_b64 s[16:17], 0
	v_mov_b32_e32 v19, 0
	s_mov_b64 s[18:19], 0
.LBB1_65:                               ;   Parent Loop BB1_30 Depth=1
                                        ; =>  This Inner Loop Header: Depth=2
	v_add_u32_e32 v9, s22, v8
	buffer_load_ubyte v9, v9, s[0:3], 0 offen
	v_mov_b32_e32 v22, s20
	s_add_i32 s22, s22, 1
	v_cmp_eq_u32_e64 s[4:5], s22, v20
	s_waitcnt vmcnt(0)
	v_and_b32_e32 v21, 0xffff, v9
	v_lshlrev_b64 v[21:22], s18, v[21:22]
	s_add_u32 s18, s18, 8
	s_addc_u32 s19, s19, 0
	v_or_b32_e32 v19, v22, v19
	s_or_b64 s[16:17], s[4:5], s[16:17]
	v_or_b32_e32 v18, v21, v18
	s_andn2_b64 exec, exec, s[16:17]
	s_cbranch_execnz .LBB1_65
; %bb.66:                               ;   in Loop: Header=BB1_30 Depth=1
	s_or_b64 exec, exec, s[16:17]
.LBB1_67:                               ;   in Loop: Header=BB1_30 Depth=1
	s_or_b64 exec, exec, s[14:15]
	v_mov_b32_e32 v9, v8
                                        ; implicit-def: $vgpr20
.LBB1_68:                               ;   in Loop: Header=BB1_30 Depth=1
	s_or_saveexec_b64 s[4:5], s[6:7]
	v_mov_b32_e32 v22, 0
	s_xor_b64 exec, exec, s[4:5]
	s_cbranch_execz .LBB1_70
; %bb.69:                               ;   in Loop: Header=BB1_30 Depth=1
	buffer_load_dword v18, v8, s[0:3], 0 offen
	buffer_load_dword v19, v8, s[0:3], 0 offen offset:4
	v_add_u32_e32 v22, -8, v20
.LBB1_70:                               ;   in Loop: Header=BB1_30 Depth=1
	s_or_b64 exec, exec, s[4:5]
	v_cmp_gt_u32_e64 s[4:5], 8, v22
	v_add_u32_e32 v8, 8, v9
                                        ; implicit-def: $vgpr20_vgpr21
	s_and_saveexec_b64 s[6:7], s[4:5]
	s_xor_b64 s[6:7], exec, s[6:7]
	s_cbranch_execz .LBB1_76
; %bb.71:                               ;   in Loop: Header=BB1_30 Depth=1
	v_mov_b32_e32 v20, 0
	v_mov_b32_e32 v21, 0
	v_cmp_ne_u32_e64 s[4:5], 0, v22
	s_and_saveexec_b64 s[14:15], s[4:5]
	s_cbranch_execz .LBB1_75
; %bb.72:                               ;   in Loop: Header=BB1_30 Depth=1
	v_mov_b32_e32 v20, 0
	s_mov_b32 s22, 0
	s_mov_b64 s[16:17], 0
	v_mov_b32_e32 v21, 0
	s_mov_b64 s[18:19], 0
.LBB1_73:                               ;   Parent Loop BB1_30 Depth=1
                                        ; =>  This Inner Loop Header: Depth=2
	v_add_u32_e32 v8, s22, v9
	buffer_load_ubyte v8, v8, s[0:3], 0 offen
	v_mov_b32_e32 v24, s20
	s_add_i32 s22, s22, 1
	v_cmp_eq_u32_e64 s[4:5], s22, v22
	s_waitcnt vmcnt(0)
	v_and_b32_e32 v23, 0xffff, v8
	v_lshlrev_b64 v[23:24], s18, v[23:24]
	s_add_u32 s18, s18, 8
	s_addc_u32 s19, s19, 0
	v_or_b32_e32 v21, v24, v21
	s_or_b64 s[16:17], s[4:5], s[16:17]
	v_or_b32_e32 v20, v23, v20
	s_andn2_b64 exec, exec, s[16:17]
	s_cbranch_execnz .LBB1_73
; %bb.74:                               ;   in Loop: Header=BB1_30 Depth=1
	s_or_b64 exec, exec, s[16:17]
.LBB1_75:                               ;   in Loop: Header=BB1_30 Depth=1
	s_or_b64 exec, exec, s[14:15]
	v_mov_b32_e32 v8, v9
                                        ; implicit-def: $vgpr22
.LBB1_76:                               ;   in Loop: Header=BB1_30 Depth=1
	s_or_saveexec_b64 s[4:5], s[6:7]
	v_mov_b32_e32 v24, 0
	s_xor_b64 exec, exec, s[4:5]
	s_cbranch_execz .LBB1_78
; %bb.77:                               ;   in Loop: Header=BB1_30 Depth=1
	buffer_load_dword v20, v9, s[0:3], 0 offen
	buffer_load_dword v21, v9, s[0:3], 0 offen offset:4
	v_add_u32_e32 v24, -8, v22
.LBB1_78:                               ;   in Loop: Header=BB1_30 Depth=1
	s_or_b64 exec, exec, s[4:5]
	v_cmp_gt_u32_e64 s[4:5], 8, v24
	s_and_saveexec_b64 s[6:7], s[4:5]
	s_xor_b64 s[6:7], exec, s[6:7]
	s_cbranch_execz .LBB1_84
; %bb.79:                               ;   in Loop: Header=BB1_30 Depth=1
	v_mov_b32_e32 v22, 0
	v_mov_b32_e32 v23, 0
	v_cmp_ne_u32_e64 s[4:5], 0, v24
	s_and_saveexec_b64 s[14:15], s[4:5]
	s_cbranch_execz .LBB1_83
; %bb.80:                               ;   in Loop: Header=BB1_30 Depth=1
	v_mov_b32_e32 v22, 0
	s_mov_b64 s[16:17], 0
	v_mov_b32_e32 v23, 0
	s_mov_b64 s[18:19], 0
.LBB1_81:                               ;   Parent Loop BB1_30 Depth=1
                                        ; =>  This Inner Loop Header: Depth=2
	buffer_load_ubyte v9, v8, s[0:3], 0 offen
	v_mov_b32_e32 v26, s20
	v_add_u32_e32 v24, -1, v24
	v_cmp_eq_u32_e64 s[4:5], 0, v24
	v_add_u32_e32 v8, 1, v8
	s_waitcnt vmcnt(0)
	v_and_b32_e32 v25, 0xffff, v9
	v_lshlrev_b64 v[25:26], s18, v[25:26]
	s_add_u32 s18, s18, 8
	s_addc_u32 s19, s19, 0
	v_or_b32_e32 v23, v26, v23
	s_or_b64 s[16:17], s[4:5], s[16:17]
	v_or_b32_e32 v22, v25, v22
	s_andn2_b64 exec, exec, s[16:17]
	s_cbranch_execnz .LBB1_81
; %bb.82:                               ;   in Loop: Header=BB1_30 Depth=1
	s_or_b64 exec, exec, s[16:17]
.LBB1_83:                               ;   in Loop: Header=BB1_30 Depth=1
	s_or_b64 exec, exec, s[14:15]
                                        ; implicit-def: $vgpr8
.LBB1_84:                               ;   in Loop: Header=BB1_30 Depth=1
	s_andn2_saveexec_b64 s[4:5], s[6:7]
	s_cbranch_execz .LBB1_86
; %bb.85:                               ;   in Loop: Header=BB1_30 Depth=1
	buffer_load_dword v22, v8, s[0:3], 0 offen
	buffer_load_dword v23, v8, s[0:3], 0 offen offset:4
.LBB1_86:                               ;   in Loop: Header=BB1_30 Depth=1
	s_or_b64 exec, exec, s[4:5]
	v_readfirstlane_b32 s4, v34
	v_mov_b32_e32 v8, 0
	v_mov_b32_e32 v9, 0
	v_cmp_eq_u32_e64 s[4:5], s4, v34
	s_and_saveexec_b64 s[14:15], s[4:5]
	s_cbranch_execz .LBB1_92
; %bb.87:                               ;   in Loop: Header=BB1_30 Depth=1
	global_load_dwordx2 v[26:27], v31, s[10:11] offset:24 glc
	s_waitcnt vmcnt(0)
	buffer_wbinvl1_vol
	global_load_dwordx2 v[8:9], v31, s[10:11] offset:40
	global_load_dwordx2 v[24:25], v31, s[10:11]
	s_waitcnt vmcnt(1)
	v_and_b32_e32 v8, v8, v26
	v_and_b32_e32 v9, v9, v27
	v_mul_lo_u32 v9, v9, 24
	v_mul_hi_u32 v30, v8, 24
	v_mul_lo_u32 v8, v8, 24
	v_add_u32_e32 v9, v30, v9
	s_waitcnt vmcnt(0)
	v_add_co_u32_e64 v8, s[6:7], v24, v8
	v_addc_co_u32_e64 v9, s[6:7], v25, v9, s[6:7]
	global_load_dwordx2 v[24:25], v[8:9], off glc
	s_waitcnt vmcnt(0)
	global_atomic_cmpswap_x2 v[8:9], v31, v[24:27], s[10:11] offset:24 glc
	s_waitcnt vmcnt(0)
	buffer_wbinvl1_vol
	v_cmp_ne_u64_e64 s[6:7], v[8:9], v[26:27]
	s_and_saveexec_b64 s[16:17], s[6:7]
	s_cbranch_execz .LBB1_91
; %bb.88:                               ;   in Loop: Header=BB1_30 Depth=1
	s_mov_b64 s[18:19], 0
.LBB1_89:                               ;   Parent Loop BB1_30 Depth=1
                                        ; =>  This Inner Loop Header: Depth=2
	s_sleep 1
	global_load_dwordx2 v[24:25], v31, s[10:11] offset:40
	global_load_dwordx2 v[32:33], v31, s[10:11]
	v_mov_b32_e32 v27, v9
	v_mov_b32_e32 v26, v8
	s_waitcnt vmcnt(1)
	v_and_b32_e32 v8, v24, v26
	s_waitcnt vmcnt(0)
	v_mad_u64_u32 v[8:9], s[6:7], v8, 24, v[32:33]
	v_and_b32_e32 v24, v25, v27
	v_mad_u64_u32 v[24:25], s[6:7], v24, 24, v[9:10]
	v_mov_b32_e32 v9, v24
	global_load_dwordx2 v[24:25], v[8:9], off glc
	s_waitcnt vmcnt(0)
	global_atomic_cmpswap_x2 v[8:9], v31, v[24:27], s[10:11] offset:24 glc
	s_waitcnt vmcnt(0)
	buffer_wbinvl1_vol
	v_cmp_eq_u64_e64 s[6:7], v[8:9], v[26:27]
	s_or_b64 s[18:19], s[6:7], s[18:19]
	s_andn2_b64 exec, exec, s[18:19]
	s_cbranch_execnz .LBB1_89
; %bb.90:                               ;   in Loop: Header=BB1_30 Depth=1
	s_or_b64 exec, exec, s[18:19]
.LBB1_91:                               ;   in Loop: Header=BB1_30 Depth=1
	s_or_b64 exec, exec, s[16:17]
.LBB1_92:                               ;   in Loop: Header=BB1_30 Depth=1
	s_or_b64 exec, exec, s[14:15]
	global_load_dwordx2 v[32:33], v31, s[10:11] offset:40
	global_load_dwordx4 v[24:27], v31, s[10:11]
	v_readfirstlane_b32 s15, v9
	v_readfirstlane_b32 s14, v8
	s_mov_b64 s[16:17], exec
	s_waitcnt vmcnt(1)
	v_readfirstlane_b32 s6, v32
	v_readfirstlane_b32 s7, v33
	s_and_b64 s[18:19], s[6:7], s[14:15]
	s_mul_i32 s6, s19, 24
	s_mul_hi_u32 s7, s18, 24
	s_mul_i32 s22, s18, 24
	s_add_i32 s6, s7, s6
	v_mov_b32_e32 v8, s6
	s_waitcnt vmcnt(0)
	v_add_co_u32_e64 v32, s[6:7], s22, v24
	v_addc_co_u32_e64 v33, s[6:7], v25, v8, s[6:7]
	s_and_saveexec_b64 s[6:7], s[4:5]
	s_cbranch_execz .LBB1_94
; %bb.93:                               ;   in Loop: Header=BB1_30 Depth=1
	v_mov_b32_e32 v8, s16
	v_mov_b32_e32 v9, s17
	global_store_dwordx4 v[32:33], v[8:11], off offset:8
.LBB1_94:                               ;   in Loop: Header=BB1_30 Depth=1
	s_or_b64 exec, exec, s[6:7]
	s_lshl_b64 s[6:7], s[18:19], 12
	v_cndmask_b32_e32 v39, 0, v29, vcc
	v_mov_b32_e32 v8, s7
	v_add_co_u32_e32 v26, vcc, s6, v26
	v_addc_co_u32_e32 v27, vcc, v27, v8, vcc
	v_cmp_gt_u64_e32 vcc, 57, v[28:29]
	v_and_b32_e32 v0, 0xffffff1f, v0
	v_cndmask_b32_e32 v8, 0, v36, vcc
	v_lshl_add_u32 v9, v38, 2, 28
	v_or_b32_e32 v0, v0, v8
	v_and_or_b32 v0, v9, s21, v0
	v_readfirstlane_b32 s6, v26
	v_readfirstlane_b32 s7, v27
	s_nop 4
	global_store_dwordx4 v35, v[0:3], s[6:7]
	global_store_dwordx4 v35, v[12:15], s[6:7] offset:16
	global_store_dwordx4 v35, v[16:19], s[6:7] offset:32
	global_store_dwordx4 v35, v[20:23], s[6:7] offset:48
	s_and_saveexec_b64 s[6:7], s[4:5]
	s_cbranch_execz .LBB1_102
; %bb.95:                               ;   in Loop: Header=BB1_30 Depth=1
	global_load_dwordx2 v[14:15], v31, s[10:11] offset:32 glc
	global_load_dwordx2 v[0:1], v31, s[10:11] offset:40
	v_mov_b32_e32 v12, s14
	v_mov_b32_e32 v13, s15
	s_waitcnt vmcnt(0)
	v_readfirstlane_b32 s16, v0
	v_readfirstlane_b32 s17, v1
	s_and_b64 s[16:17], s[16:17], s[14:15]
	s_mul_i32 s17, s17, 24
	s_mul_hi_u32 s18, s16, 24
	s_mul_i32 s16, s16, 24
	s_add_i32 s17, s18, s17
	v_mov_b32_e32 v0, s17
	v_add_co_u32_e32 v8, vcc, s16, v24
	v_addc_co_u32_e32 v9, vcc, v25, v0, vcc
	global_store_dwordx2 v[8:9], v[14:15], off
	s_waitcnt vmcnt(0)
	global_atomic_cmpswap_x2 v[2:3], v31, v[12:15], s[10:11] offset:32 glc
	s_waitcnt vmcnt(0)
	v_cmp_ne_u64_e32 vcc, v[2:3], v[14:15]
	s_and_saveexec_b64 s[16:17], vcc
	s_cbranch_execz .LBB1_98
; %bb.96:                               ;   in Loop: Header=BB1_30 Depth=1
	s_mov_b64 s[18:19], 0
.LBB1_97:                               ;   Parent Loop BB1_30 Depth=1
                                        ; =>  This Inner Loop Header: Depth=2
	s_sleep 1
	global_store_dwordx2 v[8:9], v[2:3], off
	v_mov_b32_e32 v0, s14
	v_mov_b32_e32 v1, s15
	s_waitcnt vmcnt(0)
	global_atomic_cmpswap_x2 v[0:1], v31, v[0:3], s[10:11] offset:32 glc
	s_waitcnt vmcnt(0)
	v_cmp_eq_u64_e32 vcc, v[0:1], v[2:3]
	v_mov_b32_e32 v3, v1
	s_or_b64 s[18:19], vcc, s[18:19]
	v_mov_b32_e32 v2, v0
	s_andn2_b64 exec, exec, s[18:19]
	s_cbranch_execnz .LBB1_97
.LBB1_98:                               ;   in Loop: Header=BB1_30 Depth=1
	s_or_b64 exec, exec, s[16:17]
	global_load_dwordx2 v[0:1], v31, s[10:11] offset:16
	s_mov_b64 s[18:19], exec
	v_mbcnt_lo_u32_b32 v2, s18, 0
	v_mbcnt_hi_u32_b32 v2, s19, v2
	v_cmp_eq_u32_e32 vcc, 0, v2
	s_and_saveexec_b64 s[16:17], vcc
	s_cbranch_execz .LBB1_100
; %bb.99:                               ;   in Loop: Header=BB1_30 Depth=1
	s_bcnt1_i32_b64 s18, s[18:19]
	v_mov_b32_e32 v30, s18
	s_waitcnt vmcnt(0)
	global_atomic_add_x2 v[0:1], v[30:31], off offset:8
.LBB1_100:                              ;   in Loop: Header=BB1_30 Depth=1
	s_or_b64 exec, exec, s[16:17]
	s_waitcnt vmcnt(0)
	global_load_dwordx2 v[2:3], v[0:1], off offset:16
	s_waitcnt vmcnt(0)
	v_cmp_eq_u64_e32 vcc, 0, v[2:3]
	s_cbranch_vccnz .LBB1_102
; %bb.101:                              ;   in Loop: Header=BB1_30 Depth=1
	global_load_dword v30, v[0:1], off offset:24
	s_waitcnt vmcnt(0)
	v_readfirstlane_b32 s16, v30
	s_and_b32 m0, s16, 0xffffff
	global_store_dwordx2 v[2:3], v[30:31], off
	s_sendmsg sendmsg(MSG_INTERRUPT)
.LBB1_102:                              ;   in Loop: Header=BB1_30 Depth=1
	s_or_b64 exec, exec, s[6:7]
	v_add_co_u32_e32 v0, vcc, v26, v35
	v_addc_co_u32_e32 v1, vcc, 0, v27, vcc
	s_branch .LBB1_106
.LBB1_103:                              ;   in Loop: Header=BB1_106 Depth=2
	s_or_b64 exec, exec, s[6:7]
	v_readfirstlane_b32 s6, v2
	s_cmp_eq_u32 s6, 0
	s_cbranch_scc1 .LBB1_105
; %bb.104:                              ;   in Loop: Header=BB1_106 Depth=2
	s_sleep 1
	s_cbranch_execnz .LBB1_106
	s_branch .LBB1_108
.LBB1_105:                              ;   in Loop: Header=BB1_30 Depth=1
	s_branch .LBB1_108
.LBB1_106:                              ;   Parent Loop BB1_30 Depth=1
                                        ; =>  This Inner Loop Header: Depth=2
	v_mov_b32_e32 v2, 1
	s_and_saveexec_b64 s[6:7], s[4:5]
	s_cbranch_execz .LBB1_103
; %bb.107:                              ;   in Loop: Header=BB1_106 Depth=2
	global_load_dword v2, v[32:33], off offset:20 glc
	s_waitcnt vmcnt(0)
	buffer_wbinvl1_vol
	v_and_b32_e32 v2, 1, v2
	s_branch .LBB1_103
.LBB1_108:                              ;   in Loop: Header=BB1_30 Depth=1
	global_load_dwordx2 v[0:1], v[0:1], off
	s_and_saveexec_b64 s[6:7], s[4:5]
	s_cbranch_execz .LBB1_29
; %bb.109:                              ;   in Loop: Header=BB1_30 Depth=1
	global_load_dwordx2 v[2:3], v31, s[10:11] offset:40
	global_load_dwordx2 v[16:17], v31, s[10:11] offset:24 glc
	global_load_dwordx2 v[8:9], v31, s[10:11]
	s_waitcnt vmcnt(2)
	v_readfirstlane_b32 s16, v2
	v_readfirstlane_b32 s17, v3
	s_add_u32 s18, s16, 1
	s_addc_u32 s19, s17, 0
	s_add_u32 s4, s18, s14
	s_addc_u32 s5, s19, s15
	s_cmp_eq_u64 s[4:5], 0
	s_cselect_b32 s5, s19, s5
	s_cselect_b32 s4, s18, s4
	s_and_b64 s[14:15], s[4:5], s[16:17]
	s_mul_i32 s15, s15, 24
	s_mul_hi_u32 s16, s14, 24
	s_mul_i32 s14, s14, 24
	s_add_i32 s15, s16, s15
	v_mov_b32_e32 v3, s15
	s_waitcnt vmcnt(0)
	v_add_co_u32_e32 v2, vcc, s14, v8
	v_addc_co_u32_e32 v3, vcc, v9, v3, vcc
	v_mov_b32_e32 v14, s4
	global_store_dwordx2 v[2:3], v[16:17], off
	v_mov_b32_e32 v15, s5
	s_waitcnt vmcnt(0)
	global_atomic_cmpswap_x2 v[14:15], v31, v[14:17], s[10:11] offset:24 glc
	s_waitcnt vmcnt(0)
	v_cmp_ne_u64_e32 vcc, v[14:15], v[16:17]
	s_and_b64 exec, exec, vcc
	s_cbranch_execz .LBB1_29
; %bb.110:                              ;   in Loop: Header=BB1_30 Depth=1
	s_mov_b64 s[14:15], 0
.LBB1_111:                              ;   Parent Loop BB1_30 Depth=1
                                        ; =>  This Inner Loop Header: Depth=2
	s_sleep 1
	global_store_dwordx2 v[2:3], v[14:15], off
	v_mov_b32_e32 v12, s4
	v_mov_b32_e32 v13, s5
	s_waitcnt vmcnt(0)
	global_atomic_cmpswap_x2 v[8:9], v31, v[12:15], s[10:11] offset:24 glc
	s_waitcnt vmcnt(0)
	v_cmp_eq_u64_e32 vcc, v[8:9], v[14:15]
	v_mov_b32_e32 v15, v9
	s_or_b64 s[14:15], vcc, s[14:15]
	v_mov_b32_e32 v14, v8
	s_andn2_b64 exec, exec, s[14:15]
	s_cbranch_execnz .LBB1_111
	s_branch .LBB1_29
.LBB1_112:
                                        ; implicit-def: $vgpr0_vgpr1
	s_cbranch_execnz .LBB1_114
	s_branch .LBB1_140
.LBB1_113:
	s_or_b64 exec, exec, s[12:13]
	s_branch .LBB1_140
.LBB1_114:
	v_readfirstlane_b32 s4, v34
	v_mov_b32_e32 v9, 0
	v_mov_b32_e32 v10, 0
	v_cmp_eq_u32_e64 s[4:5], s4, v34
	s_and_saveexec_b64 s[6:7], s[4:5]
	s_cbranch_execz .LBB1_120
; %bb.115:
	s_waitcnt vmcnt(0)
	v_mov_b32_e32 v0, 0
	global_load_dwordx2 v[11:12], v0, s[10:11] offset:24 glc
	s_waitcnt vmcnt(0)
	buffer_wbinvl1_vol
	global_load_dwordx2 v[1:2], v0, s[10:11] offset:40
	global_load_dwordx2 v[8:9], v0, s[10:11]
	s_waitcnt vmcnt(1)
	v_and_b32_e32 v1, v1, v11
	v_and_b32_e32 v2, v2, v12
	v_mul_lo_u32 v2, v2, 24
	v_mul_hi_u32 v3, v1, 24
	v_mul_lo_u32 v1, v1, 24
	v_add_u32_e32 v2, v3, v2
	s_waitcnt vmcnt(0)
	v_add_co_u32_e32 v1, vcc, v8, v1
	v_addc_co_u32_e32 v2, vcc, v9, v2, vcc
	global_load_dwordx2 v[9:10], v[1:2], off glc
	s_waitcnt vmcnt(0)
	global_atomic_cmpswap_x2 v[9:10], v0, v[9:12], s[10:11] offset:24 glc
	s_waitcnt vmcnt(0)
	buffer_wbinvl1_vol
	v_cmp_ne_u64_e32 vcc, v[9:10], v[11:12]
	s_and_saveexec_b64 s[12:13], vcc
	s_cbranch_execz .LBB1_119
; %bb.116:
	s_mov_b64 s[14:15], 0
.LBB1_117:                              ; =>This Inner Loop Header: Depth=1
	s_sleep 1
	global_load_dwordx2 v[1:2], v0, s[10:11] offset:40
	global_load_dwordx2 v[13:14], v0, s[10:11]
	v_mov_b32_e32 v12, v10
	v_mov_b32_e32 v11, v9
	s_waitcnt vmcnt(1)
	v_and_b32_e32 v1, v1, v11
	s_waitcnt vmcnt(0)
	v_mad_u64_u32 v[8:9], s[16:17], v1, 24, v[13:14]
	v_and_b32_e32 v2, v2, v12
	v_mov_b32_e32 v1, v9
	v_mad_u64_u32 v[1:2], s[16:17], v2, 24, v[1:2]
	v_mov_b32_e32 v9, v1
	global_load_dwordx2 v[9:10], v[8:9], off glc
	s_waitcnt vmcnt(0)
	global_atomic_cmpswap_x2 v[9:10], v0, v[9:12], s[10:11] offset:24 glc
	s_waitcnt vmcnt(0)
	buffer_wbinvl1_vol
	v_cmp_eq_u64_e32 vcc, v[9:10], v[11:12]
	s_or_b64 s[14:15], vcc, s[14:15]
	s_andn2_b64 exec, exec, s[14:15]
	s_cbranch_execnz .LBB1_117
; %bb.118:
	s_or_b64 exec, exec, s[14:15]
.LBB1_119:
	s_or_b64 exec, exec, s[12:13]
.LBB1_120:
	s_or_b64 exec, exec, s[6:7]
	v_mov_b32_e32 v8, 0
	global_load_dwordx2 v[11:12], v8, s[10:11] offset:40
	global_load_dwordx4 v[0:3], v8, s[10:11]
	v_readfirstlane_b32 s7, v10
	v_readfirstlane_b32 s6, v9
	s_mov_b64 s[12:13], exec
	s_waitcnt vmcnt(1)
	v_readfirstlane_b32 s14, v11
	v_readfirstlane_b32 s15, v12
	s_and_b64 s[14:15], s[14:15], s[6:7]
	s_mul_i32 s16, s15, 24
	s_mul_hi_u32 s17, s14, 24
	s_mul_i32 s18, s14, 24
	s_add_i32 s16, s17, s16
	v_mov_b32_e32 v9, s16
	s_waitcnt vmcnt(0)
	v_add_co_u32_e32 v10, vcc, s18, v0
	v_addc_co_u32_e32 v11, vcc, v1, v9, vcc
	s_and_saveexec_b64 s[16:17], s[4:5]
	s_cbranch_execz .LBB1_122
; %bb.121:
	v_mov_b32_e32 v12, s12
	v_mov_b32_e32 v13, s13
	;; [unrolled: 1-line block ×4, first 2 shown]
	global_store_dwordx4 v[10:11], v[12:15], off offset:8
.LBB1_122:
	s_or_b64 exec, exec, s[16:17]
	s_lshl_b64 s[12:13], s[14:15], 12
	v_mov_b32_e32 v9, s13
	v_add_co_u32_e32 v2, vcc, s12, v2
	v_addc_co_u32_e32 v3, vcc, v3, v9, vcc
	s_movk_i32 s12, 0xff1f
	v_and_or_b32 v6, v6, s12, 32
	s_mov_b32 s12, 0
	v_mov_b32_e32 v9, v8
	v_readfirstlane_b32 s16, v2
	v_readfirstlane_b32 s17, v3
	v_add_co_u32_e32 v12, vcc, v2, v35
	s_mov_b32 s13, s12
	s_mov_b32 s14, s12
	;; [unrolled: 1-line block ×3, first 2 shown]
	s_nop 0
	global_store_dwordx4 v35, v[6:9], s[16:17]
	v_addc_co_u32_e32 v13, vcc, 0, v3, vcc
	v_mov_b32_e32 v6, s12
	v_mov_b32_e32 v7, s13
	;; [unrolled: 1-line block ×4, first 2 shown]
	global_store_dwordx4 v35, v[6:9], s[16:17] offset:16
	global_store_dwordx4 v35, v[6:9], s[16:17] offset:32
	;; [unrolled: 1-line block ×3, first 2 shown]
	s_and_saveexec_b64 s[12:13], s[4:5]
	s_cbranch_execz .LBB1_130
; %bb.123:
	v_mov_b32_e32 v8, 0
	global_load_dwordx2 v[16:17], v8, s[10:11] offset:32 glc
	global_load_dwordx2 v[2:3], v8, s[10:11] offset:40
	v_mov_b32_e32 v14, s6
	v_mov_b32_e32 v15, s7
	s_waitcnt vmcnt(0)
	v_readfirstlane_b32 s14, v2
	v_readfirstlane_b32 s15, v3
	s_and_b64 s[14:15], s[14:15], s[6:7]
	s_mul_i32 s15, s15, 24
	s_mul_hi_u32 s16, s14, 24
	s_mul_i32 s14, s14, 24
	s_add_i32 s15, s16, s15
	v_mov_b32_e32 v2, s15
	v_add_co_u32_e32 v6, vcc, s14, v0
	v_addc_co_u32_e32 v7, vcc, v1, v2, vcc
	global_store_dwordx2 v[6:7], v[16:17], off
	s_waitcnt vmcnt(0)
	global_atomic_cmpswap_x2 v[2:3], v8, v[14:17], s[10:11] offset:32 glc
	s_waitcnt vmcnt(0)
	v_cmp_ne_u64_e32 vcc, v[2:3], v[16:17]
	s_and_saveexec_b64 s[14:15], vcc
	s_cbranch_execz .LBB1_126
; %bb.124:
	s_mov_b64 s[16:17], 0
.LBB1_125:                              ; =>This Inner Loop Header: Depth=1
	s_sleep 1
	global_store_dwordx2 v[6:7], v[2:3], off
	v_mov_b32_e32 v0, s6
	v_mov_b32_e32 v1, s7
	s_waitcnt vmcnt(0)
	global_atomic_cmpswap_x2 v[0:1], v8, v[0:3], s[10:11] offset:32 glc
	s_waitcnt vmcnt(0)
	v_cmp_eq_u64_e32 vcc, v[0:1], v[2:3]
	v_mov_b32_e32 v3, v1
	s_or_b64 s[16:17], vcc, s[16:17]
	v_mov_b32_e32 v2, v0
	s_andn2_b64 exec, exec, s[16:17]
	s_cbranch_execnz .LBB1_125
.LBB1_126:
	s_or_b64 exec, exec, s[14:15]
	v_mov_b32_e32 v3, 0
	global_load_dwordx2 v[0:1], v3, s[10:11] offset:16
	s_mov_b64 s[14:15], exec
	v_mbcnt_lo_u32_b32 v2, s14, 0
	v_mbcnt_hi_u32_b32 v2, s15, v2
	v_cmp_eq_u32_e32 vcc, 0, v2
	s_and_saveexec_b64 s[16:17], vcc
	s_cbranch_execz .LBB1_128
; %bb.127:
	s_bcnt1_i32_b64 s14, s[14:15]
	v_mov_b32_e32 v2, s14
	s_waitcnt vmcnt(0)
	global_atomic_add_x2 v[0:1], v[2:3], off offset:8
.LBB1_128:
	s_or_b64 exec, exec, s[16:17]
	s_waitcnt vmcnt(0)
	global_load_dwordx2 v[2:3], v[0:1], off offset:16
	s_waitcnt vmcnt(0)
	v_cmp_eq_u64_e32 vcc, 0, v[2:3]
	s_cbranch_vccnz .LBB1_130
; %bb.129:
	global_load_dword v0, v[0:1], off offset:24
	v_mov_b32_e32 v1, 0
	s_waitcnt vmcnt(0)
	v_readfirstlane_b32 s14, v0
	s_and_b32 m0, s14, 0xffffff
	global_store_dwordx2 v[2:3], v[0:1], off
	s_sendmsg sendmsg(MSG_INTERRUPT)
.LBB1_130:
	s_or_b64 exec, exec, s[12:13]
	s_branch .LBB1_134
.LBB1_131:                              ;   in Loop: Header=BB1_134 Depth=1
	s_or_b64 exec, exec, s[12:13]
	v_readfirstlane_b32 s12, v0
	s_cmp_eq_u32 s12, 0
	s_cbranch_scc1 .LBB1_133
; %bb.132:                              ;   in Loop: Header=BB1_134 Depth=1
	s_sleep 1
	s_cbranch_execnz .LBB1_134
	s_branch .LBB1_136
.LBB1_133:
	s_branch .LBB1_136
.LBB1_134:                              ; =>This Inner Loop Header: Depth=1
	v_mov_b32_e32 v0, 1
	s_and_saveexec_b64 s[12:13], s[4:5]
	s_cbranch_execz .LBB1_131
; %bb.135:                              ;   in Loop: Header=BB1_134 Depth=1
	global_load_dword v0, v[10:11], off offset:20 glc
	s_waitcnt vmcnt(0)
	buffer_wbinvl1_vol
	v_and_b32_e32 v0, 1, v0
	s_branch .LBB1_131
.LBB1_136:
	global_load_dwordx2 v[0:1], v[12:13], off
	s_and_saveexec_b64 s[12:13], s[4:5]
	s_cbranch_execz .LBB1_139
; %bb.137:
	v_mov_b32_e32 v10, 0
	global_load_dwordx2 v[2:3], v10, s[10:11] offset:40
	global_load_dwordx2 v[13:14], v10, s[10:11] offset:24 glc
	global_load_dwordx2 v[6:7], v10, s[10:11]
	s_waitcnt vmcnt(2)
	v_readfirstlane_b32 s14, v2
	v_readfirstlane_b32 s15, v3
	s_add_u32 s16, s14, 1
	s_addc_u32 s17, s15, 0
	s_add_u32 s4, s16, s6
	s_addc_u32 s5, s17, s7
	s_cmp_eq_u64 s[4:5], 0
	s_cselect_b32 s5, s17, s5
	s_cselect_b32 s4, s16, s4
	s_and_b64 s[6:7], s[4:5], s[14:15]
	s_mul_i32 s7, s7, 24
	s_mul_hi_u32 s14, s6, 24
	s_mul_i32 s6, s6, 24
	s_add_i32 s7, s14, s7
	v_mov_b32_e32 v3, s7
	s_waitcnt vmcnt(0)
	v_add_co_u32_e32 v2, vcc, s6, v6
	v_addc_co_u32_e32 v3, vcc, v7, v3, vcc
	v_mov_b32_e32 v11, s4
	global_store_dwordx2 v[2:3], v[13:14], off
	v_mov_b32_e32 v12, s5
	s_waitcnt vmcnt(0)
	global_atomic_cmpswap_x2 v[8:9], v10, v[11:14], s[10:11] offset:24 glc
	s_mov_b64 s[6:7], 0
	s_waitcnt vmcnt(0)
	v_cmp_ne_u64_e32 vcc, v[8:9], v[13:14]
	s_and_b64 exec, exec, vcc
	s_cbranch_execz .LBB1_139
.LBB1_138:                              ; =>This Inner Loop Header: Depth=1
	s_sleep 1
	global_store_dwordx2 v[2:3], v[8:9], off
	v_mov_b32_e32 v6, s4
	v_mov_b32_e32 v7, s5
	s_waitcnt vmcnt(0)
	global_atomic_cmpswap_x2 v[6:7], v10, v[6:9], s[10:11] offset:24 glc
	s_waitcnt vmcnt(0)
	v_cmp_eq_u64_e32 vcc, v[6:7], v[8:9]
	v_mov_b32_e32 v9, v7
	s_or_b64 s[6:7], vcc, s[6:7]
	v_mov_b32_e32 v8, v6
	s_andn2_b64 exec, exec, s[6:7]
	s_cbranch_execnz .LBB1_138
.LBB1_139:
	s_or_b64 exec, exec, s[12:13]
.LBB1_140:
	s_getpc_b64 s[6:7]
	s_add_u32 s6, s6, .str.4@rel32@lo+4
	s_addc_u32 s7, s7, .str.4@rel32@hi+12
	s_cmp_lg_u64 s[6:7], 0
	s_cbranch_scc0 .LBB1_225
; %bb.141:
	s_getpc_b64 s[4:5]
	s_add_u32 s4, s4, .str.4@rel32@lo+80
	s_addc_u32 s5, s5, .str.4@rel32@hi+88
	s_sub_i32 s12, s4, s6
	s_ashr_i32 s13, s12, 31
	s_waitcnt vmcnt(0)
	v_and_b32_e32 v32, 2, v0
	v_mov_b32_e32 v3, 0
	v_and_b32_e32 v6, -3, v0
	v_mov_b32_e32 v7, v1
	v_mov_b32_e32 v12, 2
	;; [unrolled: 1-line block ×3, first 2 shown]
	s_branch .LBB1_143
.LBB1_142:                              ;   in Loop: Header=BB1_143 Depth=1
	s_or_b64 exec, exec, s[18:19]
	s_sub_u32 s12, s12, s14
	s_subb_u32 s13, s13, s15
	s_add_u32 s6, s6, s14
	s_addc_u32 s7, s7, s15
	s_cmp_lg_u64 s[12:13], 0
	s_cbranch_scc0 .LBB1_226
.LBB1_143:                              ; =>This Loop Header: Depth=1
                                        ;     Child Loop BB1_146 Depth 2
                                        ;     Child Loop BB1_154 Depth 2
                                        ;     Child Loop BB1_162 Depth 2
                                        ;     Child Loop BB1_170 Depth 2
                                        ;     Child Loop BB1_178 Depth 2
                                        ;     Child Loop BB1_186 Depth 2
                                        ;     Child Loop BB1_194 Depth 2
                                        ;     Child Loop BB1_202 Depth 2
                                        ;     Child Loop BB1_210 Depth 2
                                        ;     Child Loop BB1_219 Depth 2
                                        ;     Child Loop BB1_224 Depth 2
	v_cmp_lt_u64_e64 s[4:5], s[12:13], 56
	v_cmp_gt_u64_e64 s[16:17], s[12:13], 7
	s_and_b64 s[4:5], s[4:5], exec
	s_cselect_b32 s15, s13, 0
	s_cselect_b32 s14, s12, 56
	s_add_u32 s4, s6, 8
	s_addc_u32 s5, s7, 0
	s_and_b64 vcc, exec, s[16:17]
	s_cbranch_vccnz .LBB1_147
; %bb.144:                              ;   in Loop: Header=BB1_143 Depth=1
	s_cmp_eq_u64 s[12:13], 0
	s_cbranch_scc1 .LBB1_148
; %bb.145:                              ;   in Loop: Header=BB1_143 Depth=1
	v_mov_b32_e32 v8, 0
	s_lshl_b64 s[4:5], s[14:15], 3
	s_mov_b64 s[16:17], 0
	v_mov_b32_e32 v9, 0
	s_mov_b64 s[18:19], s[6:7]
.LBB1_146:                              ;   Parent Loop BB1_143 Depth=1
                                        ; =>  This Inner Loop Header: Depth=2
	global_load_ubyte v2, v3, s[18:19]
	s_waitcnt vmcnt(0)
	v_and_b32_e32 v2, 0xffff, v2
	v_lshlrev_b64 v[10:11], s16, v[2:3]
	s_add_u32 s16, s16, 8
	s_addc_u32 s17, s17, 0
	s_add_u32 s18, s18, 1
	s_addc_u32 s19, s19, 0
	v_or_b32_e32 v8, v10, v8
	s_cmp_lg_u32 s4, s16
	v_or_b32_e32 v9, v11, v9
	s_cbranch_scc1 .LBB1_146
	s_branch .LBB1_149
.LBB1_147:                              ;   in Loop: Header=BB1_143 Depth=1
	s_mov_b32 s20, 0
	s_branch .LBB1_150
.LBB1_148:                              ;   in Loop: Header=BB1_143 Depth=1
	v_mov_b32_e32 v8, 0
	v_mov_b32_e32 v9, 0
.LBB1_149:                              ;   in Loop: Header=BB1_143 Depth=1
	s_mov_b64 s[4:5], s[6:7]
	s_mov_b32 s20, 0
	s_cbranch_execnz .LBB1_151
.LBB1_150:                              ;   in Loop: Header=BB1_143 Depth=1
	global_load_dwordx2 v[8:9], v3, s[6:7]
	s_add_i32 s20, s14, -8
.LBB1_151:                              ;   in Loop: Header=BB1_143 Depth=1
	s_add_u32 s16, s4, 8
	s_addc_u32 s17, s5, 0
	s_cmp_gt_u32 s20, 7
	s_cbranch_scc1 .LBB1_155
; %bb.152:                              ;   in Loop: Header=BB1_143 Depth=1
	s_cmp_eq_u32 s20, 0
	s_cbranch_scc1 .LBB1_156
; %bb.153:                              ;   in Loop: Header=BB1_143 Depth=1
	v_mov_b32_e32 v14, 0
	s_mov_b64 s[16:17], 0
	v_mov_b32_e32 v15, 0
	s_mov_b64 s[18:19], 0
.LBB1_154:                              ;   Parent Loop BB1_143 Depth=1
                                        ; =>  This Inner Loop Header: Depth=2
	s_add_u32 s22, s4, s18
	s_addc_u32 s23, s5, s19
	global_load_ubyte v2, v3, s[22:23]
	s_add_u32 s18, s18, 1
	s_addc_u32 s19, s19, 0
	s_waitcnt vmcnt(0)
	v_and_b32_e32 v2, 0xffff, v2
	v_lshlrev_b64 v[10:11], s16, v[2:3]
	s_add_u32 s16, s16, 8
	s_addc_u32 s17, s17, 0
	v_or_b32_e32 v14, v10, v14
	s_cmp_lg_u32 s20, s18
	v_or_b32_e32 v15, v11, v15
	s_cbranch_scc1 .LBB1_154
	s_branch .LBB1_157
.LBB1_155:                              ;   in Loop: Header=BB1_143 Depth=1
                                        ; implicit-def: $vgpr14_vgpr15
	s_mov_b32 s21, 0
	s_branch .LBB1_158
.LBB1_156:                              ;   in Loop: Header=BB1_143 Depth=1
	v_mov_b32_e32 v14, 0
	v_mov_b32_e32 v15, 0
.LBB1_157:                              ;   in Loop: Header=BB1_143 Depth=1
	s_mov_b64 s[16:17], s[4:5]
	s_mov_b32 s21, 0
	s_cbranch_execnz .LBB1_159
.LBB1_158:                              ;   in Loop: Header=BB1_143 Depth=1
	global_load_dwordx2 v[14:15], v3, s[4:5]
	s_add_i32 s21, s20, -8
.LBB1_159:                              ;   in Loop: Header=BB1_143 Depth=1
	s_add_u32 s4, s16, 8
	s_addc_u32 s5, s17, 0
	s_cmp_gt_u32 s21, 7
	s_cbranch_scc1 .LBB1_163
; %bb.160:                              ;   in Loop: Header=BB1_143 Depth=1
	s_cmp_eq_u32 s21, 0
	s_cbranch_scc1 .LBB1_164
; %bb.161:                              ;   in Loop: Header=BB1_143 Depth=1
	v_mov_b32_e32 v16, 0
	s_mov_b64 s[4:5], 0
	v_mov_b32_e32 v17, 0
	s_mov_b64 s[18:19], 0
.LBB1_162:                              ;   Parent Loop BB1_143 Depth=1
                                        ; =>  This Inner Loop Header: Depth=2
	s_add_u32 s22, s16, s18
	s_addc_u32 s23, s17, s19
	global_load_ubyte v2, v3, s[22:23]
	s_add_u32 s18, s18, 1
	s_addc_u32 s19, s19, 0
	s_waitcnt vmcnt(0)
	v_and_b32_e32 v2, 0xffff, v2
	v_lshlrev_b64 v[10:11], s4, v[2:3]
	s_add_u32 s4, s4, 8
	s_addc_u32 s5, s5, 0
	v_or_b32_e32 v16, v10, v16
	s_cmp_lg_u32 s21, s18
	v_or_b32_e32 v17, v11, v17
	s_cbranch_scc1 .LBB1_162
	s_branch .LBB1_165
.LBB1_163:                              ;   in Loop: Header=BB1_143 Depth=1
	s_mov_b32 s20, 0
	s_branch .LBB1_166
.LBB1_164:                              ;   in Loop: Header=BB1_143 Depth=1
	v_mov_b32_e32 v16, 0
	v_mov_b32_e32 v17, 0
.LBB1_165:                              ;   in Loop: Header=BB1_143 Depth=1
	s_mov_b64 s[4:5], s[16:17]
	s_mov_b32 s20, 0
	s_cbranch_execnz .LBB1_167
.LBB1_166:                              ;   in Loop: Header=BB1_143 Depth=1
	global_load_dwordx2 v[16:17], v3, s[16:17]
	s_add_i32 s20, s21, -8
.LBB1_167:                              ;   in Loop: Header=BB1_143 Depth=1
	s_add_u32 s16, s4, 8
	s_addc_u32 s17, s5, 0
	s_cmp_gt_u32 s20, 7
	s_cbranch_scc1 .LBB1_171
; %bb.168:                              ;   in Loop: Header=BB1_143 Depth=1
	s_cmp_eq_u32 s20, 0
	s_cbranch_scc1 .LBB1_172
; %bb.169:                              ;   in Loop: Header=BB1_143 Depth=1
	v_mov_b32_e32 v18, 0
	s_mov_b64 s[16:17], 0
	v_mov_b32_e32 v19, 0
	s_mov_b64 s[18:19], 0
.LBB1_170:                              ;   Parent Loop BB1_143 Depth=1
                                        ; =>  This Inner Loop Header: Depth=2
	s_add_u32 s22, s4, s18
	s_addc_u32 s23, s5, s19
	global_load_ubyte v2, v3, s[22:23]
	s_add_u32 s18, s18, 1
	s_addc_u32 s19, s19, 0
	s_waitcnt vmcnt(0)
	v_and_b32_e32 v2, 0xffff, v2
	v_lshlrev_b64 v[10:11], s16, v[2:3]
	s_add_u32 s16, s16, 8
	s_addc_u32 s17, s17, 0
	v_or_b32_e32 v18, v10, v18
	s_cmp_lg_u32 s20, s18
	v_or_b32_e32 v19, v11, v19
	s_cbranch_scc1 .LBB1_170
	s_branch .LBB1_173
.LBB1_171:                              ;   in Loop: Header=BB1_143 Depth=1
                                        ; implicit-def: $vgpr18_vgpr19
	s_mov_b32 s21, 0
	s_branch .LBB1_174
.LBB1_172:                              ;   in Loop: Header=BB1_143 Depth=1
	v_mov_b32_e32 v18, 0
	v_mov_b32_e32 v19, 0
.LBB1_173:                              ;   in Loop: Header=BB1_143 Depth=1
	s_mov_b64 s[16:17], s[4:5]
	s_mov_b32 s21, 0
	s_cbranch_execnz .LBB1_175
.LBB1_174:                              ;   in Loop: Header=BB1_143 Depth=1
	global_load_dwordx2 v[18:19], v3, s[4:5]
	s_add_i32 s21, s20, -8
.LBB1_175:                              ;   in Loop: Header=BB1_143 Depth=1
	s_add_u32 s4, s16, 8
	s_addc_u32 s5, s17, 0
	s_cmp_gt_u32 s21, 7
	s_cbranch_scc1 .LBB1_179
; %bb.176:                              ;   in Loop: Header=BB1_143 Depth=1
	s_cmp_eq_u32 s21, 0
	s_cbranch_scc1 .LBB1_180
; %bb.177:                              ;   in Loop: Header=BB1_143 Depth=1
	v_mov_b32_e32 v20, 0
	s_mov_b64 s[4:5], 0
	v_mov_b32_e32 v21, 0
	s_mov_b64 s[18:19], 0
.LBB1_178:                              ;   Parent Loop BB1_143 Depth=1
                                        ; =>  This Inner Loop Header: Depth=2
	s_add_u32 s22, s16, s18
	s_addc_u32 s23, s17, s19
	global_load_ubyte v2, v3, s[22:23]
	s_add_u32 s18, s18, 1
	s_addc_u32 s19, s19, 0
	s_waitcnt vmcnt(0)
	v_and_b32_e32 v2, 0xffff, v2
	v_lshlrev_b64 v[10:11], s4, v[2:3]
	s_add_u32 s4, s4, 8
	s_addc_u32 s5, s5, 0
	v_or_b32_e32 v20, v10, v20
	s_cmp_lg_u32 s21, s18
	v_or_b32_e32 v21, v11, v21
	s_cbranch_scc1 .LBB1_178
	s_branch .LBB1_181
.LBB1_179:                              ;   in Loop: Header=BB1_143 Depth=1
	s_mov_b32 s20, 0
	s_branch .LBB1_182
.LBB1_180:                              ;   in Loop: Header=BB1_143 Depth=1
	v_mov_b32_e32 v20, 0
	v_mov_b32_e32 v21, 0
.LBB1_181:                              ;   in Loop: Header=BB1_143 Depth=1
	s_mov_b64 s[4:5], s[16:17]
	s_mov_b32 s20, 0
	s_cbranch_execnz .LBB1_183
.LBB1_182:                              ;   in Loop: Header=BB1_143 Depth=1
	global_load_dwordx2 v[20:21], v3, s[16:17]
	s_add_i32 s20, s21, -8
.LBB1_183:                              ;   in Loop: Header=BB1_143 Depth=1
	s_add_u32 s16, s4, 8
	s_addc_u32 s17, s5, 0
	s_cmp_gt_u32 s20, 7
	s_cbranch_scc1 .LBB1_187
; %bb.184:                              ;   in Loop: Header=BB1_143 Depth=1
	s_cmp_eq_u32 s20, 0
	s_cbranch_scc1 .LBB1_188
; %bb.185:                              ;   in Loop: Header=BB1_143 Depth=1
	v_mov_b32_e32 v22, 0
	s_mov_b64 s[16:17], 0
	v_mov_b32_e32 v23, 0
	s_mov_b64 s[18:19], 0
.LBB1_186:                              ;   Parent Loop BB1_143 Depth=1
                                        ; =>  This Inner Loop Header: Depth=2
	s_add_u32 s22, s4, s18
	s_addc_u32 s23, s5, s19
	global_load_ubyte v2, v3, s[22:23]
	s_add_u32 s18, s18, 1
	s_addc_u32 s19, s19, 0
	s_waitcnt vmcnt(0)
	v_and_b32_e32 v2, 0xffff, v2
	v_lshlrev_b64 v[10:11], s16, v[2:3]
	s_add_u32 s16, s16, 8
	s_addc_u32 s17, s17, 0
	v_or_b32_e32 v22, v10, v22
	s_cmp_lg_u32 s20, s18
	v_or_b32_e32 v23, v11, v23
	s_cbranch_scc1 .LBB1_186
	s_branch .LBB1_189
.LBB1_187:                              ;   in Loop: Header=BB1_143 Depth=1
                                        ; implicit-def: $vgpr22_vgpr23
	s_mov_b32 s21, 0
	s_branch .LBB1_190
.LBB1_188:                              ;   in Loop: Header=BB1_143 Depth=1
	v_mov_b32_e32 v22, 0
	v_mov_b32_e32 v23, 0
.LBB1_189:                              ;   in Loop: Header=BB1_143 Depth=1
	s_mov_b64 s[16:17], s[4:5]
	s_mov_b32 s21, 0
	s_cbranch_execnz .LBB1_191
.LBB1_190:                              ;   in Loop: Header=BB1_143 Depth=1
	global_load_dwordx2 v[22:23], v3, s[4:5]
	s_add_i32 s21, s20, -8
.LBB1_191:                              ;   in Loop: Header=BB1_143 Depth=1
	s_cmp_gt_u32 s21, 7
	s_cbranch_scc1 .LBB1_195
; %bb.192:                              ;   in Loop: Header=BB1_143 Depth=1
	s_cmp_eq_u32 s21, 0
	s_cbranch_scc1 .LBB1_196
; %bb.193:                              ;   in Loop: Header=BB1_143 Depth=1
	v_mov_b32_e32 v24, 0
	s_mov_b64 s[4:5], 0
	v_mov_b32_e32 v25, 0
	s_mov_b64 s[18:19], s[16:17]
.LBB1_194:                              ;   Parent Loop BB1_143 Depth=1
                                        ; =>  This Inner Loop Header: Depth=2
	global_load_ubyte v2, v3, s[18:19]
	s_add_i32 s21, s21, -1
	s_waitcnt vmcnt(0)
	v_and_b32_e32 v2, 0xffff, v2
	v_lshlrev_b64 v[10:11], s4, v[2:3]
	s_add_u32 s4, s4, 8
	s_addc_u32 s5, s5, 0
	s_add_u32 s18, s18, 1
	s_addc_u32 s19, s19, 0
	v_or_b32_e32 v24, v10, v24
	s_cmp_lg_u32 s21, 0
	v_or_b32_e32 v25, v11, v25
	s_cbranch_scc1 .LBB1_194
	s_branch .LBB1_197
.LBB1_195:                              ;   in Loop: Header=BB1_143 Depth=1
	s_branch .LBB1_198
.LBB1_196:                              ;   in Loop: Header=BB1_143 Depth=1
	v_mov_b32_e32 v24, 0
	v_mov_b32_e32 v25, 0
.LBB1_197:                              ;   in Loop: Header=BB1_143 Depth=1
	s_cbranch_execnz .LBB1_199
.LBB1_198:                              ;   in Loop: Header=BB1_143 Depth=1
	global_load_dwordx2 v[24:25], v3, s[16:17]
.LBB1_199:                              ;   in Loop: Header=BB1_143 Depth=1
	v_readfirstlane_b32 s4, v34
	v_mov_b32_e32 v10, 0
	v_mov_b32_e32 v11, 0
	v_cmp_eq_u32_e64 s[4:5], s4, v34
	s_and_saveexec_b64 s[16:17], s[4:5]
	s_cbranch_execz .LBB1_205
; %bb.200:                              ;   in Loop: Header=BB1_143 Depth=1
	global_load_dwordx2 v[28:29], v3, s[10:11] offset:24 glc
	s_waitcnt vmcnt(0)
	buffer_wbinvl1_vol
	global_load_dwordx2 v[10:11], v3, s[10:11] offset:40
	global_load_dwordx2 v[26:27], v3, s[10:11]
	s_waitcnt vmcnt(1)
	v_and_b32_e32 v2, v10, v28
	v_and_b32_e32 v10, v11, v29
	v_mul_lo_u32 v10, v10, 24
	v_mul_hi_u32 v11, v2, 24
	v_mul_lo_u32 v2, v2, 24
	v_add_u32_e32 v11, v11, v10
	s_waitcnt vmcnt(0)
	v_add_co_u32_e32 v10, vcc, v26, v2
	v_addc_co_u32_e32 v11, vcc, v27, v11, vcc
	global_load_dwordx2 v[26:27], v[10:11], off glc
	s_waitcnt vmcnt(0)
	global_atomic_cmpswap_x2 v[10:11], v3, v[26:29], s[10:11] offset:24 glc
	s_waitcnt vmcnt(0)
	buffer_wbinvl1_vol
	v_cmp_ne_u64_e32 vcc, v[10:11], v[28:29]
	s_and_saveexec_b64 s[18:19], vcc
	s_cbranch_execz .LBB1_204
; %bb.201:                              ;   in Loop: Header=BB1_143 Depth=1
	s_mov_b64 s[20:21], 0
.LBB1_202:                              ;   Parent Loop BB1_143 Depth=1
                                        ; =>  This Inner Loop Header: Depth=2
	s_sleep 1
	global_load_dwordx2 v[26:27], v3, s[10:11] offset:40
	global_load_dwordx2 v[30:31], v3, s[10:11]
	v_mov_b32_e32 v29, v11
	v_mov_b32_e32 v28, v10
	s_waitcnt vmcnt(1)
	v_and_b32_e32 v2, v26, v28
	s_waitcnt vmcnt(0)
	v_mad_u64_u32 v[10:11], s[22:23], v2, 24, v[30:31]
	v_and_b32_e32 v26, v27, v29
	v_mov_b32_e32 v2, v11
	v_mad_u64_u32 v[26:27], s[22:23], v26, 24, v[2:3]
	v_mov_b32_e32 v11, v26
	global_load_dwordx2 v[26:27], v[10:11], off glc
	s_waitcnt vmcnt(0)
	global_atomic_cmpswap_x2 v[10:11], v3, v[26:29], s[10:11] offset:24 glc
	s_waitcnt vmcnt(0)
	buffer_wbinvl1_vol
	v_cmp_eq_u64_e32 vcc, v[10:11], v[28:29]
	s_or_b64 s[20:21], vcc, s[20:21]
	s_andn2_b64 exec, exec, s[20:21]
	s_cbranch_execnz .LBB1_202
; %bb.203:                              ;   in Loop: Header=BB1_143 Depth=1
	s_or_b64 exec, exec, s[20:21]
.LBB1_204:                              ;   in Loop: Header=BB1_143 Depth=1
	s_or_b64 exec, exec, s[18:19]
.LBB1_205:                              ;   in Loop: Header=BB1_143 Depth=1
	s_or_b64 exec, exec, s[16:17]
	global_load_dwordx2 v[30:31], v3, s[10:11] offset:40
	global_load_dwordx4 v[26:29], v3, s[10:11]
	v_readfirstlane_b32 s17, v11
	v_readfirstlane_b32 s16, v10
	s_mov_b64 s[18:19], exec
	s_waitcnt vmcnt(1)
	v_readfirstlane_b32 s20, v30
	v_readfirstlane_b32 s21, v31
	s_and_b64 s[20:21], s[20:21], s[16:17]
	s_mul_i32 s22, s21, 24
	s_mul_hi_u32 s23, s20, 24
	s_mul_i32 s24, s20, 24
	s_add_i32 s22, s23, s22
	v_mov_b32_e32 v2, s22
	s_waitcnt vmcnt(0)
	v_add_co_u32_e32 v30, vcc, s24, v26
	v_addc_co_u32_e32 v31, vcc, v27, v2, vcc
	s_and_saveexec_b64 s[22:23], s[4:5]
	s_cbranch_execz .LBB1_207
; %bb.206:                              ;   in Loop: Header=BB1_143 Depth=1
	v_mov_b32_e32 v10, s18
	v_mov_b32_e32 v11, s19
	global_store_dwordx4 v[30:31], v[10:13], off offset:8
.LBB1_207:                              ;   in Loop: Header=BB1_143 Depth=1
	s_or_b64 exec, exec, s[22:23]
	s_lshl_b64 s[18:19], s[20:21], 12
	v_mov_b32_e32 v2, s19
	v_add_co_u32_e32 v28, vcc, s18, v28
	v_addc_co_u32_e32 v29, vcc, v29, v2, vcc
	v_cmp_lt_u64_e64 vcc, s[12:13], 57
	s_lshl_b32 s18, s14, 2
	v_cndmask_b32_e32 v2, 0, v32, vcc
	s_add_i32 s18, s18, 28
	v_and_b32_e32 v6, 0xffffff1f, v6
	s_and_b32 s18, s18, 0x1e0
	v_or_b32_e32 v2, v6, v2
	v_or_b32_e32 v6, s18, v2
	v_readfirstlane_b32 s18, v28
	v_readfirstlane_b32 s19, v29
	s_nop 4
	global_store_dwordx4 v35, v[6:9], s[18:19]
	global_store_dwordx4 v35, v[14:17], s[18:19] offset:16
	global_store_dwordx4 v35, v[18:21], s[18:19] offset:32
	;; [unrolled: 1-line block ×3, first 2 shown]
	s_and_saveexec_b64 s[18:19], s[4:5]
	s_cbranch_execz .LBB1_215
; %bb.208:                              ;   in Loop: Header=BB1_143 Depth=1
	global_load_dwordx2 v[16:17], v3, s[10:11] offset:32 glc
	global_load_dwordx2 v[6:7], v3, s[10:11] offset:40
	v_mov_b32_e32 v14, s16
	v_mov_b32_e32 v15, s17
	s_waitcnt vmcnt(0)
	v_readfirstlane_b32 s20, v6
	v_readfirstlane_b32 s21, v7
	s_and_b64 s[20:21], s[20:21], s[16:17]
	s_mul_i32 s21, s21, 24
	s_mul_hi_u32 s22, s20, 24
	s_mul_i32 s20, s20, 24
	s_add_i32 s21, s22, s21
	v_mov_b32_e32 v2, s21
	v_add_co_u32_e32 v10, vcc, s20, v26
	v_addc_co_u32_e32 v11, vcc, v27, v2, vcc
	global_store_dwordx2 v[10:11], v[16:17], off
	s_waitcnt vmcnt(0)
	global_atomic_cmpswap_x2 v[8:9], v3, v[14:17], s[10:11] offset:32 glc
	s_waitcnt vmcnt(0)
	v_cmp_ne_u64_e32 vcc, v[8:9], v[16:17]
	s_and_saveexec_b64 s[20:21], vcc
	s_cbranch_execz .LBB1_211
; %bb.209:                              ;   in Loop: Header=BB1_143 Depth=1
	s_mov_b64 s[22:23], 0
.LBB1_210:                              ;   Parent Loop BB1_143 Depth=1
                                        ; =>  This Inner Loop Header: Depth=2
	s_sleep 1
	global_store_dwordx2 v[10:11], v[8:9], off
	v_mov_b32_e32 v6, s16
	v_mov_b32_e32 v7, s17
	s_waitcnt vmcnt(0)
	global_atomic_cmpswap_x2 v[6:7], v3, v[6:9], s[10:11] offset:32 glc
	s_waitcnt vmcnt(0)
	v_cmp_eq_u64_e32 vcc, v[6:7], v[8:9]
	v_mov_b32_e32 v9, v7
	s_or_b64 s[22:23], vcc, s[22:23]
	v_mov_b32_e32 v8, v6
	s_andn2_b64 exec, exec, s[22:23]
	s_cbranch_execnz .LBB1_210
.LBB1_211:                              ;   in Loop: Header=BB1_143 Depth=1
	s_or_b64 exec, exec, s[20:21]
	global_load_dwordx2 v[6:7], v3, s[10:11] offset:16
	s_mov_b64 s[22:23], exec
	v_mbcnt_lo_u32_b32 v2, s22, 0
	v_mbcnt_hi_u32_b32 v2, s23, v2
	v_cmp_eq_u32_e32 vcc, 0, v2
	s_and_saveexec_b64 s[20:21], vcc
	s_cbranch_execz .LBB1_213
; %bb.212:                              ;   in Loop: Header=BB1_143 Depth=1
	s_bcnt1_i32_b64 s22, s[22:23]
	v_mov_b32_e32 v2, s22
	s_waitcnt vmcnt(0)
	global_atomic_add_x2 v[6:7], v[2:3], off offset:8
.LBB1_213:                              ;   in Loop: Header=BB1_143 Depth=1
	s_or_b64 exec, exec, s[20:21]
	s_waitcnt vmcnt(0)
	global_load_dwordx2 v[8:9], v[6:7], off offset:16
	s_waitcnt vmcnt(0)
	v_cmp_eq_u64_e32 vcc, 0, v[8:9]
	s_cbranch_vccnz .LBB1_215
; %bb.214:                              ;   in Loop: Header=BB1_143 Depth=1
	global_load_dword v2, v[6:7], off offset:24
	s_waitcnt vmcnt(0)
	v_readfirstlane_b32 s20, v2
	s_and_b32 m0, s20, 0xffffff
	global_store_dwordx2 v[8:9], v[2:3], off
	s_sendmsg sendmsg(MSG_INTERRUPT)
.LBB1_215:                              ;   in Loop: Header=BB1_143 Depth=1
	s_or_b64 exec, exec, s[18:19]
	v_add_co_u32_e32 v6, vcc, v28, v35
	v_addc_co_u32_e32 v7, vcc, 0, v29, vcc
	s_branch .LBB1_219
.LBB1_216:                              ;   in Loop: Header=BB1_219 Depth=2
	s_or_b64 exec, exec, s[18:19]
	v_readfirstlane_b32 s18, v2
	s_cmp_eq_u32 s18, 0
	s_cbranch_scc1 .LBB1_218
; %bb.217:                              ;   in Loop: Header=BB1_219 Depth=2
	s_sleep 1
	s_cbranch_execnz .LBB1_219
	s_branch .LBB1_221
.LBB1_218:                              ;   in Loop: Header=BB1_143 Depth=1
	s_branch .LBB1_221
.LBB1_219:                              ;   Parent Loop BB1_143 Depth=1
                                        ; =>  This Inner Loop Header: Depth=2
	v_mov_b32_e32 v2, 1
	s_and_saveexec_b64 s[18:19], s[4:5]
	s_cbranch_execz .LBB1_216
; %bb.220:                              ;   in Loop: Header=BB1_219 Depth=2
	global_load_dword v2, v[30:31], off offset:20 glc
	s_waitcnt vmcnt(0)
	buffer_wbinvl1_vol
	v_and_b32_e32 v2, 1, v2
	s_branch .LBB1_216
.LBB1_221:                              ;   in Loop: Header=BB1_143 Depth=1
	global_load_dwordx2 v[6:7], v[6:7], off
	s_and_saveexec_b64 s[18:19], s[4:5]
	s_cbranch_execz .LBB1_142
; %bb.222:                              ;   in Loop: Header=BB1_143 Depth=1
	global_load_dwordx2 v[8:9], v3, s[10:11] offset:40
	global_load_dwordx2 v[18:19], v3, s[10:11] offset:24 glc
	global_load_dwordx2 v[10:11], v3, s[10:11]
	s_waitcnt vmcnt(2)
	v_readfirstlane_b32 s20, v8
	v_readfirstlane_b32 s21, v9
	s_add_u32 s22, s20, 1
	s_addc_u32 s23, s21, 0
	s_add_u32 s4, s22, s16
	s_addc_u32 s5, s23, s17
	s_cmp_eq_u64 s[4:5], 0
	s_cselect_b32 s5, s23, s5
	s_cselect_b32 s4, s22, s4
	s_and_b64 s[16:17], s[4:5], s[20:21]
	s_mul_i32 s17, s17, 24
	s_mul_hi_u32 s20, s16, 24
	s_mul_i32 s16, s16, 24
	s_add_i32 s17, s20, s17
	v_mov_b32_e32 v2, s17
	s_waitcnt vmcnt(0)
	v_add_co_u32_e32 v14, vcc, s16, v10
	v_addc_co_u32_e32 v15, vcc, v11, v2, vcc
	v_mov_b32_e32 v16, s4
	global_store_dwordx2 v[14:15], v[18:19], off
	v_mov_b32_e32 v17, s5
	s_waitcnt vmcnt(0)
	global_atomic_cmpswap_x2 v[10:11], v3, v[16:19], s[10:11] offset:24 glc
	s_waitcnt vmcnt(0)
	v_cmp_ne_u64_e32 vcc, v[10:11], v[18:19]
	s_and_b64 exec, exec, vcc
	s_cbranch_execz .LBB1_142
; %bb.223:                              ;   in Loop: Header=BB1_143 Depth=1
	s_mov_b64 s[16:17], 0
.LBB1_224:                              ;   Parent Loop BB1_143 Depth=1
                                        ; =>  This Inner Loop Header: Depth=2
	s_sleep 1
	global_store_dwordx2 v[14:15], v[10:11], off
	v_mov_b32_e32 v8, s4
	v_mov_b32_e32 v9, s5
	s_waitcnt vmcnt(0)
	global_atomic_cmpswap_x2 v[8:9], v3, v[8:11], s[10:11] offset:24 glc
	s_waitcnt vmcnt(0)
	v_cmp_eq_u64_e32 vcc, v[8:9], v[10:11]
	v_mov_b32_e32 v11, v9
	s_or_b64 s[16:17], vcc, s[16:17]
	v_mov_b32_e32 v10, v8
	s_andn2_b64 exec, exec, s[16:17]
	s_cbranch_execnz .LBB1_224
	s_branch .LBB1_142
.LBB1_225:
                                        ; implicit-def: $vgpr6_vgpr7
	s_cbranch_execnz .LBB1_227
	s_branch .LBB1_253
.LBB1_226:
	s_branch .LBB1_253
.LBB1_227:
	v_readfirstlane_b32 s4, v34
	v_mov_b32_e32 v10, 0
	v_mov_b32_e32 v11, 0
	v_cmp_eq_u32_e64 s[4:5], s4, v34
	s_and_saveexec_b64 s[6:7], s[4:5]
	s_cbranch_execz .LBB1_233
; %bb.228:
	v_mov_b32_e32 v2, 0
	global_load_dwordx2 v[8:9], v2, s[10:11] offset:24 glc
	s_waitcnt vmcnt(0)
	buffer_wbinvl1_vol
	global_load_dwordx2 v[6:7], v2, s[10:11] offset:40
	global_load_dwordx2 v[10:11], v2, s[10:11]
	s_waitcnt vmcnt(1)
	v_and_b32_e32 v3, v6, v8
	v_and_b32_e32 v6, v7, v9
	v_mul_lo_u32 v6, v6, 24
	v_mul_hi_u32 v7, v3, 24
	v_mul_lo_u32 v3, v3, 24
	v_add_u32_e32 v7, v7, v6
	s_waitcnt vmcnt(0)
	v_add_co_u32_e32 v6, vcc, v10, v3
	v_addc_co_u32_e32 v7, vcc, v11, v7, vcc
	global_load_dwordx2 v[6:7], v[6:7], off glc
	s_waitcnt vmcnt(0)
	global_atomic_cmpswap_x2 v[10:11], v2, v[6:9], s[10:11] offset:24 glc
	s_waitcnt vmcnt(0)
	buffer_wbinvl1_vol
	v_cmp_ne_u64_e32 vcc, v[10:11], v[8:9]
	s_and_saveexec_b64 s[12:13], vcc
	s_cbranch_execz .LBB1_232
; %bb.229:
	s_mov_b64 s[14:15], 0
.LBB1_230:                              ; =>This Inner Loop Header: Depth=1
	s_sleep 1
	global_load_dwordx2 v[6:7], v2, s[10:11] offset:40
	global_load_dwordx2 v[12:13], v2, s[10:11]
	v_mov_b32_e32 v8, v10
	v_mov_b32_e32 v9, v11
	s_waitcnt vmcnt(1)
	v_and_b32_e32 v3, v6, v8
	s_waitcnt vmcnt(0)
	v_mad_u64_u32 v[10:11], s[16:17], v3, 24, v[12:13]
	v_and_b32_e32 v6, v7, v9
	v_mov_b32_e32 v3, v11
	v_mad_u64_u32 v[6:7], s[16:17], v6, 24, v[3:4]
	v_mov_b32_e32 v11, v6
	global_load_dwordx2 v[6:7], v[10:11], off glc
	s_waitcnt vmcnt(0)
	global_atomic_cmpswap_x2 v[10:11], v2, v[6:9], s[10:11] offset:24 glc
	s_waitcnt vmcnt(0)
	buffer_wbinvl1_vol
	v_cmp_eq_u64_e32 vcc, v[10:11], v[8:9]
	s_or_b64 s[14:15], vcc, s[14:15]
	s_andn2_b64 exec, exec, s[14:15]
	s_cbranch_execnz .LBB1_230
; %bb.231:
	s_or_b64 exec, exec, s[14:15]
.LBB1_232:
	s_or_b64 exec, exec, s[12:13]
.LBB1_233:
	s_or_b64 exec, exec, s[6:7]
	v_mov_b32_e32 v2, 0
	global_load_dwordx2 v[12:13], v2, s[10:11] offset:40
	global_load_dwordx4 v[6:9], v2, s[10:11]
	v_readfirstlane_b32 s7, v11
	v_readfirstlane_b32 s6, v10
	s_mov_b64 s[12:13], exec
	s_waitcnt vmcnt(1)
	v_readfirstlane_b32 s14, v12
	v_readfirstlane_b32 s15, v13
	s_and_b64 s[14:15], s[14:15], s[6:7]
	s_mul_i32 s16, s15, 24
	s_mul_hi_u32 s17, s14, 24
	s_mul_i32 s18, s14, 24
	s_add_i32 s16, s17, s16
	v_mov_b32_e32 v3, s16
	s_waitcnt vmcnt(0)
	v_add_co_u32_e32 v10, vcc, s18, v6
	v_addc_co_u32_e32 v11, vcc, v7, v3, vcc
	s_and_saveexec_b64 s[16:17], s[4:5]
	s_cbranch_execz .LBB1_235
; %bb.234:
	v_mov_b32_e32 v12, s12
	v_mov_b32_e32 v13, s13
	v_mov_b32_e32 v14, 2
	v_mov_b32_e32 v15, 1
	global_store_dwordx4 v[10:11], v[12:15], off offset:8
.LBB1_235:
	s_or_b64 exec, exec, s[16:17]
	s_lshl_b64 s[12:13], s[14:15], 12
	v_mov_b32_e32 v3, s13
	v_add_co_u32_e32 v12, vcc, s12, v8
	v_addc_co_u32_e32 v13, vcc, v9, v3, vcc
	s_movk_i32 s12, 0xff1f
	v_and_or_b32 v0, v0, s12, 32
	s_mov_b32 s12, 0
	v_mov_b32_e32 v3, v2
	v_readfirstlane_b32 s16, v12
	v_readfirstlane_b32 s17, v13
	v_add_co_u32_e32 v8, vcc, v12, v35
	s_mov_b32 s13, s12
	s_mov_b32 s14, s12
	;; [unrolled: 1-line block ×3, first 2 shown]
	s_nop 0
	global_store_dwordx4 v35, v[0:3], s[16:17]
	v_addc_co_u32_e32 v9, vcc, 0, v13, vcc
	v_mov_b32_e32 v0, s12
	v_mov_b32_e32 v1, s13
	;; [unrolled: 1-line block ×4, first 2 shown]
	global_store_dwordx4 v35, v[0:3], s[16:17] offset:16
	global_store_dwordx4 v35, v[0:3], s[16:17] offset:32
	;; [unrolled: 1-line block ×3, first 2 shown]
	s_and_saveexec_b64 s[12:13], s[4:5]
	s_cbranch_execz .LBB1_243
; %bb.236:
	v_mov_b32_e32 v12, 0
	global_load_dwordx2 v[15:16], v12, s[10:11] offset:32 glc
	global_load_dwordx2 v[0:1], v12, s[10:11] offset:40
	v_mov_b32_e32 v13, s6
	v_mov_b32_e32 v14, s7
	s_waitcnt vmcnt(0)
	v_readfirstlane_b32 s14, v0
	v_readfirstlane_b32 s15, v1
	s_and_b64 s[14:15], s[14:15], s[6:7]
	s_mul_i32 s15, s15, 24
	s_mul_hi_u32 s16, s14, 24
	s_mul_i32 s14, s14, 24
	s_add_i32 s15, s16, s15
	v_mov_b32_e32 v0, s15
	v_add_co_u32_e32 v6, vcc, s14, v6
	v_addc_co_u32_e32 v7, vcc, v7, v0, vcc
	global_store_dwordx2 v[6:7], v[15:16], off
	s_waitcnt vmcnt(0)
	global_atomic_cmpswap_x2 v[2:3], v12, v[13:16], s[10:11] offset:32 glc
	s_waitcnt vmcnt(0)
	v_cmp_ne_u64_e32 vcc, v[2:3], v[15:16]
	s_and_saveexec_b64 s[14:15], vcc
	s_cbranch_execz .LBB1_239
; %bb.237:
	s_mov_b64 s[16:17], 0
.LBB1_238:                              ; =>This Inner Loop Header: Depth=1
	s_sleep 1
	global_store_dwordx2 v[6:7], v[2:3], off
	v_mov_b32_e32 v0, s6
	v_mov_b32_e32 v1, s7
	s_waitcnt vmcnt(0)
	global_atomic_cmpswap_x2 v[0:1], v12, v[0:3], s[10:11] offset:32 glc
	s_waitcnt vmcnt(0)
	v_cmp_eq_u64_e32 vcc, v[0:1], v[2:3]
	v_mov_b32_e32 v3, v1
	s_or_b64 s[16:17], vcc, s[16:17]
	v_mov_b32_e32 v2, v0
	s_andn2_b64 exec, exec, s[16:17]
	s_cbranch_execnz .LBB1_238
.LBB1_239:
	s_or_b64 exec, exec, s[14:15]
	v_mov_b32_e32 v3, 0
	global_load_dwordx2 v[0:1], v3, s[10:11] offset:16
	s_mov_b64 s[14:15], exec
	v_mbcnt_lo_u32_b32 v2, s14, 0
	v_mbcnt_hi_u32_b32 v2, s15, v2
	v_cmp_eq_u32_e32 vcc, 0, v2
	s_and_saveexec_b64 s[16:17], vcc
	s_cbranch_execz .LBB1_241
; %bb.240:
	s_bcnt1_i32_b64 s14, s[14:15]
	v_mov_b32_e32 v2, s14
	s_waitcnt vmcnt(0)
	global_atomic_add_x2 v[0:1], v[2:3], off offset:8
.LBB1_241:
	s_or_b64 exec, exec, s[16:17]
	s_waitcnt vmcnt(0)
	global_load_dwordx2 v[2:3], v[0:1], off offset:16
	s_waitcnt vmcnt(0)
	v_cmp_eq_u64_e32 vcc, 0, v[2:3]
	s_cbranch_vccnz .LBB1_243
; %bb.242:
	global_load_dword v0, v[0:1], off offset:24
	v_mov_b32_e32 v1, 0
	s_waitcnt vmcnt(0)
	v_readfirstlane_b32 s14, v0
	s_and_b32 m0, s14, 0xffffff
	global_store_dwordx2 v[2:3], v[0:1], off
	s_sendmsg sendmsg(MSG_INTERRUPT)
.LBB1_243:
	s_or_b64 exec, exec, s[12:13]
	s_branch .LBB1_247
.LBB1_244:                              ;   in Loop: Header=BB1_247 Depth=1
	s_or_b64 exec, exec, s[12:13]
	v_readfirstlane_b32 s12, v0
	s_cmp_eq_u32 s12, 0
	s_cbranch_scc1 .LBB1_246
; %bb.245:                              ;   in Loop: Header=BB1_247 Depth=1
	s_sleep 1
	s_cbranch_execnz .LBB1_247
	s_branch .LBB1_249
.LBB1_246:
	s_branch .LBB1_249
.LBB1_247:                              ; =>This Inner Loop Header: Depth=1
	v_mov_b32_e32 v0, 1
	s_and_saveexec_b64 s[12:13], s[4:5]
	s_cbranch_execz .LBB1_244
; %bb.248:                              ;   in Loop: Header=BB1_247 Depth=1
	global_load_dword v0, v[10:11], off offset:20 glc
	s_waitcnt vmcnt(0)
	buffer_wbinvl1_vol
	v_and_b32_e32 v0, 1, v0
	s_branch .LBB1_244
.LBB1_249:
	global_load_dwordx2 v[6:7], v[8:9], off
	s_and_saveexec_b64 s[12:13], s[4:5]
	s_cbranch_execz .LBB1_252
; %bb.250:
	v_mov_b32_e32 v10, 0
	global_load_dwordx2 v[0:1], v10, s[10:11] offset:40
	global_load_dwordx2 v[13:14], v10, s[10:11] offset:24 glc
	global_load_dwordx2 v[2:3], v10, s[10:11]
	s_waitcnt vmcnt(2)
	v_readfirstlane_b32 s14, v0
	v_readfirstlane_b32 s15, v1
	s_add_u32 s16, s14, 1
	s_addc_u32 s17, s15, 0
	s_add_u32 s4, s16, s6
	s_addc_u32 s5, s17, s7
	s_cmp_eq_u64 s[4:5], 0
	s_cselect_b32 s5, s17, s5
	s_cselect_b32 s4, s16, s4
	s_and_b64 s[6:7], s[4:5], s[14:15]
	s_mul_i32 s7, s7, 24
	s_mul_hi_u32 s14, s6, 24
	s_mul_i32 s6, s6, 24
	s_add_i32 s7, s14, s7
	v_mov_b32_e32 v0, s7
	s_waitcnt vmcnt(0)
	v_add_co_u32_e32 v8, vcc, s6, v2
	v_addc_co_u32_e32 v9, vcc, v3, v0, vcc
	v_mov_b32_e32 v11, s4
	global_store_dwordx2 v[8:9], v[13:14], off
	v_mov_b32_e32 v12, s5
	s_waitcnt vmcnt(0)
	global_atomic_cmpswap_x2 v[2:3], v10, v[11:14], s[10:11] offset:24 glc
	s_mov_b64 s[6:7], 0
	s_waitcnt vmcnt(0)
	v_cmp_ne_u64_e32 vcc, v[2:3], v[13:14]
	s_and_b64 exec, exec, vcc
	s_cbranch_execz .LBB1_252
.LBB1_251:                              ; =>This Inner Loop Header: Depth=1
	s_sleep 1
	global_store_dwordx2 v[8:9], v[2:3], off
	v_mov_b32_e32 v0, s4
	v_mov_b32_e32 v1, s5
	s_waitcnt vmcnt(0)
	global_atomic_cmpswap_x2 v[0:1], v10, v[0:3], s[10:11] offset:24 glc
	s_waitcnt vmcnt(0)
	v_cmp_eq_u64_e32 vcc, v[0:1], v[2:3]
	v_mov_b32_e32 v3, v1
	s_or_b64 s[6:7], vcc, s[6:7]
	v_mov_b32_e32 v2, v0
	s_andn2_b64 exec, exec, s[6:7]
	s_cbranch_execnz .LBB1_251
.LBB1_252:
	s_or_b64 exec, exec, s[12:13]
.LBB1_253:
	v_readfirstlane_b32 s4, v34
	v_mov_b32_e32 v10, 0
	v_mov_b32_e32 v11, 0
	v_cmp_eq_u32_e64 s[4:5], s4, v34
	s_and_saveexec_b64 s[6:7], s[4:5]
	s_cbranch_execz .LBB1_259
; %bb.254:
	s_waitcnt vmcnt(0)
	v_mov_b32_e32 v0, 0
	global_load_dwordx2 v[12:13], v0, s[10:11] offset:24 glc
	s_waitcnt vmcnt(0)
	buffer_wbinvl1_vol
	global_load_dwordx2 v[1:2], v0, s[10:11] offset:40
	global_load_dwordx2 v[8:9], v0, s[10:11]
	s_waitcnt vmcnt(1)
	v_and_b32_e32 v1, v1, v12
	v_and_b32_e32 v2, v2, v13
	v_mul_lo_u32 v2, v2, 24
	v_mul_hi_u32 v3, v1, 24
	v_mul_lo_u32 v1, v1, 24
	v_add_u32_e32 v2, v3, v2
	s_waitcnt vmcnt(0)
	v_add_co_u32_e32 v1, vcc, v8, v1
	v_addc_co_u32_e32 v2, vcc, v9, v2, vcc
	global_load_dwordx2 v[10:11], v[1:2], off glc
	s_waitcnt vmcnt(0)
	global_atomic_cmpswap_x2 v[10:11], v0, v[10:13], s[10:11] offset:24 glc
	s_waitcnt vmcnt(0)
	buffer_wbinvl1_vol
	v_cmp_ne_u64_e32 vcc, v[10:11], v[12:13]
	s_and_saveexec_b64 s[12:13], vcc
	s_cbranch_execz .LBB1_258
; %bb.255:
	s_mov_b64 s[14:15], 0
.LBB1_256:                              ; =>This Inner Loop Header: Depth=1
	s_sleep 1
	global_load_dwordx2 v[1:2], v0, s[10:11] offset:40
	global_load_dwordx2 v[8:9], v0, s[10:11]
	v_mov_b32_e32 v13, v11
	v_mov_b32_e32 v12, v10
	s_waitcnt vmcnt(1)
	v_and_b32_e32 v1, v1, v12
	s_waitcnt vmcnt(0)
	v_mad_u64_u32 v[8:9], s[16:17], v1, 24, v[8:9]
	v_and_b32_e32 v2, v2, v13
	v_mov_b32_e32 v1, v9
	v_mad_u64_u32 v[1:2], s[16:17], v2, 24, v[1:2]
	v_mov_b32_e32 v9, v1
	global_load_dwordx2 v[10:11], v[8:9], off glc
	s_waitcnt vmcnt(0)
	global_atomic_cmpswap_x2 v[10:11], v0, v[10:13], s[10:11] offset:24 glc
	s_waitcnt vmcnt(0)
	buffer_wbinvl1_vol
	v_cmp_eq_u64_e32 vcc, v[10:11], v[12:13]
	s_or_b64 s[14:15], vcc, s[14:15]
	s_andn2_b64 exec, exec, s[14:15]
	s_cbranch_execnz .LBB1_256
; %bb.257:
	s_or_b64 exec, exec, s[14:15]
.LBB1_258:
	s_or_b64 exec, exec, s[12:13]
.LBB1_259:
	s_or_b64 exec, exec, s[6:7]
	v_mov_b32_e32 v9, 0
	global_load_dwordx2 v[12:13], v9, s[10:11] offset:40
	global_load_dwordx4 v[0:3], v9, s[10:11]
	v_readfirstlane_b32 s7, v11
	v_readfirstlane_b32 s6, v10
	s_mov_b64 s[12:13], exec
	s_waitcnt vmcnt(1)
	v_readfirstlane_b32 s14, v12
	v_readfirstlane_b32 s15, v13
	s_and_b64 s[14:15], s[14:15], s[6:7]
	s_mul_i32 s16, s15, 24
	s_mul_hi_u32 s17, s14, 24
	s_mul_i32 s18, s14, 24
	s_add_i32 s16, s17, s16
	v_mov_b32_e32 v8, s16
	s_waitcnt vmcnt(0)
	v_add_co_u32_e32 v10, vcc, s18, v0
	v_addc_co_u32_e32 v11, vcc, v1, v8, vcc
	s_and_saveexec_b64 s[16:17], s[4:5]
	s_cbranch_execz .LBB1_261
; %bb.260:
	v_mov_b32_e32 v12, s12
	v_mov_b32_e32 v13, s13
	v_mov_b32_e32 v14, 2
	v_mov_b32_e32 v15, 1
	global_store_dwordx4 v[10:11], v[12:15], off offset:8
.LBB1_261:
	s_or_b64 exec, exec, s[16:17]
	s_lshl_b64 s[12:13], s[14:15], 12
	v_mov_b32_e32 v8, s13
	v_add_co_u32_e32 v2, vcc, s12, v2
	v_addc_co_u32_e32 v3, vcc, v3, v8, vcc
	s_movk_i32 s12, 0xff1f
	v_and_or_b32 v6, v6, s12, 32
	s_mov_b32 s12, 0
	v_mov_b32_e32 v8, 0x331
	v_readfirstlane_b32 s16, v2
	v_readfirstlane_b32 s17, v3
	v_add_co_u32_e32 v12, vcc, v2, v35
	s_mov_b32 s13, s12
	s_mov_b32 s14, s12
	;; [unrolled: 1-line block ×3, first 2 shown]
	s_nop 0
	global_store_dwordx4 v35, v[6:9], s[16:17]
	v_addc_co_u32_e32 v13, vcc, 0, v3, vcc
	v_mov_b32_e32 v6, s12
	v_mov_b32_e32 v7, s13
	;; [unrolled: 1-line block ×4, first 2 shown]
	global_store_dwordx4 v35, v[6:9], s[16:17] offset:16
	global_store_dwordx4 v35, v[6:9], s[16:17] offset:32
	;; [unrolled: 1-line block ×3, first 2 shown]
	s_and_saveexec_b64 s[12:13], s[4:5]
	s_cbranch_execz .LBB1_269
; %bb.262:
	v_mov_b32_e32 v8, 0
	global_load_dwordx2 v[16:17], v8, s[10:11] offset:32 glc
	global_load_dwordx2 v[2:3], v8, s[10:11] offset:40
	v_mov_b32_e32 v14, s6
	v_mov_b32_e32 v15, s7
	s_waitcnt vmcnt(0)
	v_readfirstlane_b32 s14, v2
	v_readfirstlane_b32 s15, v3
	s_and_b64 s[14:15], s[14:15], s[6:7]
	s_mul_i32 s15, s15, 24
	s_mul_hi_u32 s16, s14, 24
	s_mul_i32 s14, s14, 24
	s_add_i32 s15, s16, s15
	v_mov_b32_e32 v2, s15
	v_add_co_u32_e32 v6, vcc, s14, v0
	v_addc_co_u32_e32 v7, vcc, v1, v2, vcc
	global_store_dwordx2 v[6:7], v[16:17], off
	s_waitcnt vmcnt(0)
	global_atomic_cmpswap_x2 v[2:3], v8, v[14:17], s[10:11] offset:32 glc
	s_waitcnt vmcnt(0)
	v_cmp_ne_u64_e32 vcc, v[2:3], v[16:17]
	s_and_saveexec_b64 s[14:15], vcc
	s_cbranch_execz .LBB1_265
; %bb.263:
	s_mov_b64 s[16:17], 0
.LBB1_264:                              ; =>This Inner Loop Header: Depth=1
	s_sleep 1
	global_store_dwordx2 v[6:7], v[2:3], off
	v_mov_b32_e32 v0, s6
	v_mov_b32_e32 v1, s7
	s_waitcnt vmcnt(0)
	global_atomic_cmpswap_x2 v[0:1], v8, v[0:3], s[10:11] offset:32 glc
	s_waitcnt vmcnt(0)
	v_cmp_eq_u64_e32 vcc, v[0:1], v[2:3]
	v_mov_b32_e32 v3, v1
	s_or_b64 s[16:17], vcc, s[16:17]
	v_mov_b32_e32 v2, v0
	s_andn2_b64 exec, exec, s[16:17]
	s_cbranch_execnz .LBB1_264
.LBB1_265:
	s_or_b64 exec, exec, s[14:15]
	v_mov_b32_e32 v3, 0
	global_load_dwordx2 v[0:1], v3, s[10:11] offset:16
	s_mov_b64 s[14:15], exec
	v_mbcnt_lo_u32_b32 v2, s14, 0
	v_mbcnt_hi_u32_b32 v2, s15, v2
	v_cmp_eq_u32_e32 vcc, 0, v2
	s_and_saveexec_b64 s[16:17], vcc
	s_cbranch_execz .LBB1_267
; %bb.266:
	s_bcnt1_i32_b64 s14, s[14:15]
	v_mov_b32_e32 v2, s14
	s_waitcnt vmcnt(0)
	global_atomic_add_x2 v[0:1], v[2:3], off offset:8
.LBB1_267:
	s_or_b64 exec, exec, s[16:17]
	s_waitcnt vmcnt(0)
	global_load_dwordx2 v[2:3], v[0:1], off offset:16
	s_waitcnt vmcnt(0)
	v_cmp_eq_u64_e32 vcc, 0, v[2:3]
	s_cbranch_vccnz .LBB1_269
; %bb.268:
	global_load_dword v0, v[0:1], off offset:24
	v_mov_b32_e32 v1, 0
	s_waitcnt vmcnt(0)
	v_readfirstlane_b32 s14, v0
	s_and_b32 m0, s14, 0xffffff
	global_store_dwordx2 v[2:3], v[0:1], off
	s_sendmsg sendmsg(MSG_INTERRUPT)
.LBB1_269:
	s_or_b64 exec, exec, s[12:13]
	s_branch .LBB1_273
.LBB1_270:                              ;   in Loop: Header=BB1_273 Depth=1
	s_or_b64 exec, exec, s[12:13]
	v_readfirstlane_b32 s12, v0
	s_cmp_eq_u32 s12, 0
	s_cbranch_scc1 .LBB1_272
; %bb.271:                              ;   in Loop: Header=BB1_273 Depth=1
	s_sleep 1
	s_cbranch_execnz .LBB1_273
	s_branch .LBB1_275
.LBB1_272:
	s_branch .LBB1_275
.LBB1_273:                              ; =>This Inner Loop Header: Depth=1
	v_mov_b32_e32 v0, 1
	s_and_saveexec_b64 s[12:13], s[4:5]
	s_cbranch_execz .LBB1_270
; %bb.274:                              ;   in Loop: Header=BB1_273 Depth=1
	global_load_dword v0, v[10:11], off offset:20 glc
	s_waitcnt vmcnt(0)
	buffer_wbinvl1_vol
	v_and_b32_e32 v0, 1, v0
	s_branch .LBB1_270
.LBB1_275:
	global_load_dwordx2 v[0:1], v[12:13], off
	s_and_saveexec_b64 s[12:13], s[4:5]
	s_cbranch_execz .LBB1_278
; %bb.276:
	v_mov_b32_e32 v10, 0
	global_load_dwordx2 v[2:3], v10, s[10:11] offset:40
	global_load_dwordx2 v[13:14], v10, s[10:11] offset:24 glc
	global_load_dwordx2 v[6:7], v10, s[10:11]
	s_waitcnt vmcnt(2)
	v_readfirstlane_b32 s14, v2
	v_readfirstlane_b32 s15, v3
	s_add_u32 s16, s14, 1
	s_addc_u32 s17, s15, 0
	s_add_u32 s4, s16, s6
	s_addc_u32 s5, s17, s7
	s_cmp_eq_u64 s[4:5], 0
	s_cselect_b32 s5, s17, s5
	s_cselect_b32 s4, s16, s4
	s_and_b64 s[6:7], s[4:5], s[14:15]
	s_mul_i32 s7, s7, 24
	s_mul_hi_u32 s14, s6, 24
	s_mul_i32 s6, s6, 24
	s_add_i32 s7, s14, s7
	v_mov_b32_e32 v3, s7
	s_waitcnt vmcnt(0)
	v_add_co_u32_e32 v2, vcc, s6, v6
	v_addc_co_u32_e32 v3, vcc, v7, v3, vcc
	v_mov_b32_e32 v11, s4
	global_store_dwordx2 v[2:3], v[13:14], off
	v_mov_b32_e32 v12, s5
	s_waitcnt vmcnt(0)
	global_atomic_cmpswap_x2 v[8:9], v10, v[11:14], s[10:11] offset:24 glc
	s_mov_b64 s[6:7], 0
	s_waitcnt vmcnt(0)
	v_cmp_ne_u64_e32 vcc, v[8:9], v[13:14]
	s_and_b64 exec, exec, vcc
	s_cbranch_execz .LBB1_278
.LBB1_277:                              ; =>This Inner Loop Header: Depth=1
	s_sleep 1
	global_store_dwordx2 v[2:3], v[8:9], off
	v_mov_b32_e32 v6, s4
	v_mov_b32_e32 v7, s5
	s_waitcnt vmcnt(0)
	global_atomic_cmpswap_x2 v[6:7], v10, v[6:9], s[10:11] offset:24 glc
	s_waitcnt vmcnt(0)
	v_cmp_eq_u64_e32 vcc, v[6:7], v[8:9]
	v_mov_b32_e32 v9, v7
	s_or_b64 s[6:7], vcc, s[6:7]
	v_mov_b32_e32 v8, v6
	s_andn2_b64 exec, exec, s[6:7]
	s_cbranch_execnz .LBB1_277
.LBB1_278:
	s_or_b64 exec, exec, s[12:13]
	v_mov_b32_e32 v7, v5
	s_mov_b64 s[4:5], 0
	v_mov_b32_e32 v6, v4
.LBB1_279:                              ; =>This Inner Loop Header: Depth=1
	global_load_ubyte v8, v[6:7], off
	v_add_co_u32_e32 v2, vcc, 1, v6
	v_addc_co_u32_e32 v3, vcc, 0, v7, vcc
	v_mov_b32_e32 v7, v3
	v_mov_b32_e32 v6, v2
	s_waitcnt vmcnt(0)
	v_cmp_eq_u16_e32 vcc, 0, v8
	s_or_b64 s[4:5], vcc, s[4:5]
	s_andn2_b64 exec, exec, s[4:5]
	s_cbranch_execnz .LBB1_279
; %bb.280:
	s_or_b64 exec, exec, s[4:5]
	v_cmp_ne_u64_e32 vcc, 0, v[4:5]
	s_mov_b64 s[12:13], 0
	s_and_saveexec_b64 s[4:5], vcc
	s_xor_b64 s[6:7], exec, s[4:5]
	s_cbranch_execz .LBB1_366
; %bb.281:
	v_sub_u32_e32 v26, v2, v4
	v_ashrrev_i32_e32 v27, 31, v26
	v_and_b32_e32 v36, 2, v0
	v_mov_b32_e32 v29, 0
	v_and_b32_e32 v0, -3, v0
	s_mov_b32 s22, 0
	s_movk_i32 s23, 0x1e0
	v_mov_b32_e32 v8, 2
	v_mov_b32_e32 v9, 1
	s_branch .LBB1_283
.LBB1_282:                              ;   in Loop: Header=BB1_283 Depth=1
	s_or_b64 exec, exec, s[16:17]
	v_sub_co_u32_e32 v26, vcc, v26, v30
	v_subb_co_u32_e32 v27, vcc, v27, v31, vcc
	v_cmp_eq_u64_e32 vcc, 0, v[26:27]
	s_or_b64 s[12:13], vcc, s[12:13]
	v_add_co_u32_e32 v4, vcc, v4, v30
	v_addc_co_u32_e32 v5, vcc, v5, v31, vcc
	s_andn2_b64 exec, exec, s[12:13]
	s_cbranch_execz .LBB1_365
.LBB1_283:                              ; =>This Loop Header: Depth=1
                                        ;     Child Loop BB1_286 Depth 2
                                        ;     Child Loop BB1_294 Depth 2
	;; [unrolled: 1-line block ×11, first 2 shown]
	v_cmp_gt_u64_e32 vcc, 56, v[26:27]
	v_add_co_u32_e64 v12, s[4:5], 8, v4
	v_cndmask_b32_e32 v31, 0, v27, vcc
	v_cndmask_b32_e32 v30, 56, v26, vcc
	v_cmp_gt_u64_e32 vcc, 8, v[26:27]
	v_addc_co_u32_e64 v13, s[4:5], 0, v5, s[4:5]
	s_and_saveexec_b64 s[4:5], vcc
	s_xor_b64 s[4:5], exec, s[4:5]
	s_cbranch_execz .LBB1_289
; %bb.284:                              ;   in Loop: Header=BB1_283 Depth=1
	v_mov_b32_e32 v2, 0
	v_cmp_ne_u64_e32 vcc, 0, v[26:27]
	v_mov_b32_e32 v3, 0
	s_and_saveexec_b64 s[14:15], vcc
	s_cbranch_execz .LBB1_288
; %bb.285:                              ;   in Loop: Header=BB1_283 Depth=1
	v_lshlrev_b64 v[6:7], 3, v[30:31]
	v_mov_b32_e32 v2, 0
	v_mov_b32_e32 v11, v5
	s_mov_b64 s[16:17], 0
	v_mov_b32_e32 v3, 0
	v_mov_b32_e32 v10, v4
	s_mov_b64 s[18:19], 0
.LBB1_286:                              ;   Parent Loop BB1_283 Depth=1
                                        ; =>  This Inner Loop Header: Depth=2
	global_load_ubyte v7, v[10:11], off
	v_mov_b32_e32 v13, s22
	v_add_co_u32_e32 v10, vcc, 1, v10
	v_addc_co_u32_e32 v11, vcc, 0, v11, vcc
	s_waitcnt vmcnt(0)
	v_and_b32_e32 v12, 0xffff, v7
	v_lshlrev_b64 v[12:13], s18, v[12:13]
	s_add_u32 s18, s18, 8
	s_addc_u32 s19, s19, 0
	v_cmp_eq_u32_e32 vcc, s18, v6
	v_or_b32_e32 v3, v13, v3
	s_or_b64 s[16:17], vcc, s[16:17]
	v_or_b32_e32 v2, v12, v2
	s_andn2_b64 exec, exec, s[16:17]
	s_cbranch_execnz .LBB1_286
; %bb.287:                              ;   in Loop: Header=BB1_283 Depth=1
	s_or_b64 exec, exec, s[16:17]
.LBB1_288:                              ;   in Loop: Header=BB1_283 Depth=1
	s_or_b64 exec, exec, s[14:15]
	v_mov_b32_e32 v13, v5
	v_mov_b32_e32 v12, v4
.LBB1_289:                              ;   in Loop: Header=BB1_283 Depth=1
	s_or_saveexec_b64 s[4:5], s[4:5]
	v_mov_b32_e32 v14, 0
	s_xor_b64 exec, exec, s[4:5]
	s_cbranch_execz .LBB1_291
; %bb.290:                              ;   in Loop: Header=BB1_283 Depth=1
	global_load_dwordx2 v[2:3], v[4:5], off
	v_add_u32_e32 v14, -8, v30
.LBB1_291:                              ;   in Loop: Header=BB1_283 Depth=1
	s_or_b64 exec, exec, s[4:5]
	v_add_co_u32_e64 v6, s[4:5], 8, v12
	v_cmp_gt_u32_e32 vcc, 8, v14
	v_addc_co_u32_e64 v7, s[4:5], 0, v13, s[4:5]
                                        ; implicit-def: $vgpr10_vgpr11
	s_and_saveexec_b64 s[4:5], vcc
	s_xor_b64 s[4:5], exec, s[4:5]
	s_cbranch_execz .LBB1_297
; %bb.292:                              ;   in Loop: Header=BB1_283 Depth=1
	v_mov_b32_e32 v10, 0
	v_mov_b32_e32 v11, 0
	v_cmp_ne_u32_e32 vcc, 0, v14
	s_and_saveexec_b64 s[14:15], vcc
	s_cbranch_execz .LBB1_296
; %bb.293:                              ;   in Loop: Header=BB1_283 Depth=1
	v_mov_b32_e32 v10, 0
	s_mov_b64 s[16:17], 0
	v_mov_b32_e32 v11, 0
	s_mov_b64 s[18:19], 0
	s_mov_b64 s[20:21], 0
.LBB1_294:                              ;   Parent Loop BB1_283 Depth=1
                                        ; =>  This Inner Loop Header: Depth=2
	v_mov_b32_e32 v7, s21
	v_add_co_u32_e32 v6, vcc, s20, v12
	v_addc_co_u32_e32 v7, vcc, v13, v7, vcc
	global_load_ubyte v6, v[6:7], off
	s_add_u32 s20, s20, 1
	v_mov_b32_e32 v7, s22
	s_addc_u32 s21, s21, 0
	v_cmp_eq_u32_e32 vcc, s20, v14
	s_waitcnt vmcnt(0)
	v_and_b32_e32 v6, 0xffff, v6
	v_lshlrev_b64 v[6:7], s18, v[6:7]
	s_add_u32 s18, s18, 8
	s_addc_u32 s19, s19, 0
	v_or_b32_e32 v11, v7, v11
	s_or_b64 s[16:17], vcc, s[16:17]
	v_or_b32_e32 v10, v6, v10
	s_andn2_b64 exec, exec, s[16:17]
	s_cbranch_execnz .LBB1_294
; %bb.295:                              ;   in Loop: Header=BB1_283 Depth=1
	s_or_b64 exec, exec, s[16:17]
.LBB1_296:                              ;   in Loop: Header=BB1_283 Depth=1
	s_or_b64 exec, exec, s[14:15]
	v_mov_b32_e32 v6, v12
	v_mov_b32_e32 v7, v13
                                        ; implicit-def: $vgpr14
.LBB1_297:                              ;   in Loop: Header=BB1_283 Depth=1
	s_or_saveexec_b64 s[4:5], s[4:5]
	v_mov_b32_e32 v15, 0
	s_xor_b64 exec, exec, s[4:5]
	s_cbranch_execz .LBB1_299
; %bb.298:                              ;   in Loop: Header=BB1_283 Depth=1
	global_load_dwordx2 v[10:11], v[12:13], off
	v_add_u32_e32 v15, -8, v14
.LBB1_299:                              ;   in Loop: Header=BB1_283 Depth=1
	s_or_b64 exec, exec, s[4:5]
	v_add_co_u32_e64 v16, s[4:5], 8, v6
	v_cmp_gt_u32_e32 vcc, 8, v15
	v_addc_co_u32_e64 v17, s[4:5], 0, v7, s[4:5]
	s_and_saveexec_b64 s[4:5], vcc
	s_xor_b64 s[4:5], exec, s[4:5]
	s_cbranch_execz .LBB1_305
; %bb.300:                              ;   in Loop: Header=BB1_283 Depth=1
	v_mov_b32_e32 v12, 0
	v_mov_b32_e32 v13, 0
	v_cmp_ne_u32_e32 vcc, 0, v15
	s_and_saveexec_b64 s[14:15], vcc
	s_cbranch_execz .LBB1_304
; %bb.301:                              ;   in Loop: Header=BB1_283 Depth=1
	v_mov_b32_e32 v12, 0
	s_mov_b64 s[16:17], 0
	v_mov_b32_e32 v13, 0
	s_mov_b64 s[18:19], 0
	s_mov_b64 s[20:21], 0
.LBB1_302:                              ;   Parent Loop BB1_283 Depth=1
                                        ; =>  This Inner Loop Header: Depth=2
	v_mov_b32_e32 v14, s21
	v_add_co_u32_e32 v16, vcc, s20, v6
	v_addc_co_u32_e32 v17, vcc, v7, v14, vcc
	global_load_ubyte v14, v[16:17], off
	s_add_u32 s20, s20, 1
	v_mov_b32_e32 v17, s22
	s_addc_u32 s21, s21, 0
	v_cmp_eq_u32_e32 vcc, s20, v15
	s_waitcnt vmcnt(0)
	v_and_b32_e32 v16, 0xffff, v14
	v_lshlrev_b64 v[16:17], s18, v[16:17]
	s_add_u32 s18, s18, 8
	s_addc_u32 s19, s19, 0
	v_or_b32_e32 v13, v17, v13
	s_or_b64 s[16:17], vcc, s[16:17]
	v_or_b32_e32 v12, v16, v12
	s_andn2_b64 exec, exec, s[16:17]
	s_cbranch_execnz .LBB1_302
; %bb.303:                              ;   in Loop: Header=BB1_283 Depth=1
	s_or_b64 exec, exec, s[16:17]
.LBB1_304:                              ;   in Loop: Header=BB1_283 Depth=1
	s_or_b64 exec, exec, s[14:15]
	v_mov_b32_e32 v17, v7
	v_mov_b32_e32 v16, v6
                                        ; implicit-def: $vgpr15
.LBB1_305:                              ;   in Loop: Header=BB1_283 Depth=1
	s_or_saveexec_b64 s[4:5], s[4:5]
	v_mov_b32_e32 v18, 0
	s_xor_b64 exec, exec, s[4:5]
	s_cbranch_execz .LBB1_307
; %bb.306:                              ;   in Loop: Header=BB1_283 Depth=1
	global_load_dwordx2 v[12:13], v[6:7], off
	v_add_u32_e32 v18, -8, v15
.LBB1_307:                              ;   in Loop: Header=BB1_283 Depth=1
	s_or_b64 exec, exec, s[4:5]
	v_add_co_u32_e64 v6, s[4:5], 8, v16
	v_cmp_gt_u32_e32 vcc, 8, v18
	v_addc_co_u32_e64 v7, s[4:5], 0, v17, s[4:5]
                                        ; implicit-def: $vgpr14_vgpr15
	s_and_saveexec_b64 s[4:5], vcc
	s_xor_b64 s[4:5], exec, s[4:5]
	s_cbranch_execz .LBB1_313
; %bb.308:                              ;   in Loop: Header=BB1_283 Depth=1
	v_mov_b32_e32 v14, 0
	v_mov_b32_e32 v15, 0
	v_cmp_ne_u32_e32 vcc, 0, v18
	s_and_saveexec_b64 s[14:15], vcc
	s_cbranch_execz .LBB1_312
; %bb.309:                              ;   in Loop: Header=BB1_283 Depth=1
	v_mov_b32_e32 v14, 0
	s_mov_b64 s[16:17], 0
	v_mov_b32_e32 v15, 0
	s_mov_b64 s[18:19], 0
	s_mov_b64 s[20:21], 0
.LBB1_310:                              ;   Parent Loop BB1_283 Depth=1
                                        ; =>  This Inner Loop Header: Depth=2
	v_mov_b32_e32 v7, s21
	v_add_co_u32_e32 v6, vcc, s20, v16
	v_addc_co_u32_e32 v7, vcc, v17, v7, vcc
	global_load_ubyte v6, v[6:7], off
	s_add_u32 s20, s20, 1
	v_mov_b32_e32 v7, s22
	s_addc_u32 s21, s21, 0
	v_cmp_eq_u32_e32 vcc, s20, v18
	s_waitcnt vmcnt(0)
	v_and_b32_e32 v6, 0xffff, v6
	v_lshlrev_b64 v[6:7], s18, v[6:7]
	s_add_u32 s18, s18, 8
	s_addc_u32 s19, s19, 0
	v_or_b32_e32 v15, v7, v15
	s_or_b64 s[16:17], vcc, s[16:17]
	v_or_b32_e32 v14, v6, v14
	s_andn2_b64 exec, exec, s[16:17]
	s_cbranch_execnz .LBB1_310
; %bb.311:                              ;   in Loop: Header=BB1_283 Depth=1
	s_or_b64 exec, exec, s[16:17]
.LBB1_312:                              ;   in Loop: Header=BB1_283 Depth=1
	s_or_b64 exec, exec, s[14:15]
	v_mov_b32_e32 v6, v16
	v_mov_b32_e32 v7, v17
                                        ; implicit-def: $vgpr18
.LBB1_313:                              ;   in Loop: Header=BB1_283 Depth=1
	s_or_saveexec_b64 s[4:5], s[4:5]
	v_mov_b32_e32 v19, 0
	s_xor_b64 exec, exec, s[4:5]
	s_cbranch_execz .LBB1_315
; %bb.314:                              ;   in Loop: Header=BB1_283 Depth=1
	global_load_dwordx2 v[14:15], v[16:17], off
	v_add_u32_e32 v19, -8, v18
.LBB1_315:                              ;   in Loop: Header=BB1_283 Depth=1
	s_or_b64 exec, exec, s[4:5]
	v_add_co_u32_e64 v20, s[4:5], 8, v6
	v_cmp_gt_u32_e32 vcc, 8, v19
	v_addc_co_u32_e64 v21, s[4:5], 0, v7, s[4:5]
	s_and_saveexec_b64 s[4:5], vcc
	s_xor_b64 s[4:5], exec, s[4:5]
	s_cbranch_execz .LBB1_321
; %bb.316:                              ;   in Loop: Header=BB1_283 Depth=1
	v_mov_b32_e32 v16, 0
	v_mov_b32_e32 v17, 0
	v_cmp_ne_u32_e32 vcc, 0, v19
	s_and_saveexec_b64 s[14:15], vcc
	s_cbranch_execz .LBB1_320
; %bb.317:                              ;   in Loop: Header=BB1_283 Depth=1
	v_mov_b32_e32 v16, 0
	s_mov_b64 s[16:17], 0
	v_mov_b32_e32 v17, 0
	s_mov_b64 s[18:19], 0
	s_mov_b64 s[20:21], 0
.LBB1_318:                              ;   Parent Loop BB1_283 Depth=1
                                        ; =>  This Inner Loop Header: Depth=2
	v_mov_b32_e32 v18, s21
	v_add_co_u32_e32 v20, vcc, s20, v6
	v_addc_co_u32_e32 v21, vcc, v7, v18, vcc
	global_load_ubyte v18, v[20:21], off
	s_add_u32 s20, s20, 1
	v_mov_b32_e32 v21, s22
	s_addc_u32 s21, s21, 0
	v_cmp_eq_u32_e32 vcc, s20, v19
	s_waitcnt vmcnt(0)
	v_and_b32_e32 v20, 0xffff, v18
	v_lshlrev_b64 v[20:21], s18, v[20:21]
	s_add_u32 s18, s18, 8
	s_addc_u32 s19, s19, 0
	v_or_b32_e32 v17, v21, v17
	s_or_b64 s[16:17], vcc, s[16:17]
	v_or_b32_e32 v16, v20, v16
	s_andn2_b64 exec, exec, s[16:17]
	s_cbranch_execnz .LBB1_318
; %bb.319:                              ;   in Loop: Header=BB1_283 Depth=1
	s_or_b64 exec, exec, s[16:17]
.LBB1_320:                              ;   in Loop: Header=BB1_283 Depth=1
	s_or_b64 exec, exec, s[14:15]
	v_mov_b32_e32 v21, v7
	v_mov_b32_e32 v20, v6
                                        ; implicit-def: $vgpr19
.LBB1_321:                              ;   in Loop: Header=BB1_283 Depth=1
	s_or_saveexec_b64 s[4:5], s[4:5]
	v_mov_b32_e32 v22, 0
	s_xor_b64 exec, exec, s[4:5]
	s_cbranch_execz .LBB1_323
; %bb.322:                              ;   in Loop: Header=BB1_283 Depth=1
	global_load_dwordx2 v[16:17], v[6:7], off
	v_add_u32_e32 v22, -8, v19
.LBB1_323:                              ;   in Loop: Header=BB1_283 Depth=1
	s_or_b64 exec, exec, s[4:5]
	v_add_co_u32_e64 v6, s[4:5], 8, v20
	v_cmp_gt_u32_e32 vcc, 8, v22
	v_addc_co_u32_e64 v7, s[4:5], 0, v21, s[4:5]
                                        ; implicit-def: $vgpr18_vgpr19
	s_and_saveexec_b64 s[4:5], vcc
	s_xor_b64 s[4:5], exec, s[4:5]
	s_cbranch_execz .LBB1_329
; %bb.324:                              ;   in Loop: Header=BB1_283 Depth=1
	v_mov_b32_e32 v18, 0
	v_mov_b32_e32 v19, 0
	v_cmp_ne_u32_e32 vcc, 0, v22
	s_and_saveexec_b64 s[14:15], vcc
	s_cbranch_execz .LBB1_328
; %bb.325:                              ;   in Loop: Header=BB1_283 Depth=1
	v_mov_b32_e32 v18, 0
	s_mov_b64 s[16:17], 0
	v_mov_b32_e32 v19, 0
	s_mov_b64 s[18:19], 0
	s_mov_b64 s[20:21], 0
.LBB1_326:                              ;   Parent Loop BB1_283 Depth=1
                                        ; =>  This Inner Loop Header: Depth=2
	v_mov_b32_e32 v7, s21
	v_add_co_u32_e32 v6, vcc, s20, v20
	v_addc_co_u32_e32 v7, vcc, v21, v7, vcc
	global_load_ubyte v6, v[6:7], off
	s_add_u32 s20, s20, 1
	v_mov_b32_e32 v7, s22
	s_addc_u32 s21, s21, 0
	v_cmp_eq_u32_e32 vcc, s20, v22
	s_waitcnt vmcnt(0)
	v_and_b32_e32 v6, 0xffff, v6
	v_lshlrev_b64 v[6:7], s18, v[6:7]
	s_add_u32 s18, s18, 8
	s_addc_u32 s19, s19, 0
	v_or_b32_e32 v19, v7, v19
	s_or_b64 s[16:17], vcc, s[16:17]
	v_or_b32_e32 v18, v6, v18
	s_andn2_b64 exec, exec, s[16:17]
	s_cbranch_execnz .LBB1_326
; %bb.327:                              ;   in Loop: Header=BB1_283 Depth=1
	s_or_b64 exec, exec, s[16:17]
.LBB1_328:                              ;   in Loop: Header=BB1_283 Depth=1
	s_or_b64 exec, exec, s[14:15]
	v_mov_b32_e32 v6, v20
	v_mov_b32_e32 v7, v21
                                        ; implicit-def: $vgpr22
.LBB1_329:                              ;   in Loop: Header=BB1_283 Depth=1
	s_or_saveexec_b64 s[4:5], s[4:5]
	v_mov_b32_e32 v23, 0
	s_xor_b64 exec, exec, s[4:5]
	s_cbranch_execz .LBB1_331
; %bb.330:                              ;   in Loop: Header=BB1_283 Depth=1
	global_load_dwordx2 v[18:19], v[20:21], off
	v_add_u32_e32 v23, -8, v22
.LBB1_331:                              ;   in Loop: Header=BB1_283 Depth=1
	s_or_b64 exec, exec, s[4:5]
	v_cmp_gt_u32_e32 vcc, 8, v23
	s_and_saveexec_b64 s[4:5], vcc
	s_xor_b64 s[4:5], exec, s[4:5]
	s_cbranch_execz .LBB1_337
; %bb.332:                              ;   in Loop: Header=BB1_283 Depth=1
	v_mov_b32_e32 v20, 0
	v_mov_b32_e32 v21, 0
	v_cmp_ne_u32_e32 vcc, 0, v23
	s_and_saveexec_b64 s[14:15], vcc
	s_cbranch_execz .LBB1_336
; %bb.333:                              ;   in Loop: Header=BB1_283 Depth=1
	v_mov_b32_e32 v20, 0
	s_mov_b64 s[16:17], 0
	v_mov_b32_e32 v21, 0
	s_mov_b64 s[18:19], 0
.LBB1_334:                              ;   Parent Loop BB1_283 Depth=1
                                        ; =>  This Inner Loop Header: Depth=2
	global_load_ubyte v22, v[6:7], off
	v_mov_b32_e32 v25, s22
	v_add_co_u32_e32 v6, vcc, 1, v6
	v_add_u32_e32 v23, -1, v23
	v_addc_co_u32_e32 v7, vcc, 0, v7, vcc
	v_cmp_eq_u32_e32 vcc, 0, v23
	s_waitcnt vmcnt(0)
	v_and_b32_e32 v24, 0xffff, v22
	v_lshlrev_b64 v[24:25], s18, v[24:25]
	s_add_u32 s18, s18, 8
	s_addc_u32 s19, s19, 0
	v_or_b32_e32 v21, v25, v21
	s_or_b64 s[16:17], vcc, s[16:17]
	v_or_b32_e32 v20, v24, v20
	s_andn2_b64 exec, exec, s[16:17]
	s_cbranch_execnz .LBB1_334
; %bb.335:                              ;   in Loop: Header=BB1_283 Depth=1
	s_or_b64 exec, exec, s[16:17]
.LBB1_336:                              ;   in Loop: Header=BB1_283 Depth=1
	s_or_b64 exec, exec, s[14:15]
                                        ; implicit-def: $vgpr6_vgpr7
.LBB1_337:                              ;   in Loop: Header=BB1_283 Depth=1
	s_andn2_saveexec_b64 s[4:5], s[4:5]
	s_cbranch_execz .LBB1_339
; %bb.338:                              ;   in Loop: Header=BB1_283 Depth=1
	global_load_dwordx2 v[20:21], v[6:7], off
.LBB1_339:                              ;   in Loop: Header=BB1_283 Depth=1
	s_or_b64 exec, exec, s[4:5]
	v_readfirstlane_b32 s4, v34
	v_mov_b32_e32 v6, 0
	v_mov_b32_e32 v7, 0
	v_cmp_eq_u32_e64 s[4:5], s4, v34
	s_and_saveexec_b64 s[14:15], s[4:5]
	s_cbranch_execz .LBB1_345
; %bb.340:                              ;   in Loop: Header=BB1_283 Depth=1
	global_load_dwordx2 v[24:25], v29, s[10:11] offset:24 glc
	s_waitcnt vmcnt(0)
	buffer_wbinvl1_vol
	global_load_dwordx2 v[6:7], v29, s[10:11] offset:40
	global_load_dwordx2 v[22:23], v29, s[10:11]
	s_waitcnt vmcnt(1)
	v_and_b32_e32 v6, v6, v24
	v_and_b32_e32 v7, v7, v25
	v_mul_lo_u32 v7, v7, 24
	v_mul_hi_u32 v28, v6, 24
	v_mul_lo_u32 v6, v6, 24
	v_add_u32_e32 v7, v28, v7
	s_waitcnt vmcnt(0)
	v_add_co_u32_e32 v6, vcc, v22, v6
	v_addc_co_u32_e32 v7, vcc, v23, v7, vcc
	global_load_dwordx2 v[22:23], v[6:7], off glc
	s_waitcnt vmcnt(0)
	global_atomic_cmpswap_x2 v[6:7], v29, v[22:25], s[10:11] offset:24 glc
	s_waitcnt vmcnt(0)
	buffer_wbinvl1_vol
	v_cmp_ne_u64_e32 vcc, v[6:7], v[24:25]
	s_and_saveexec_b64 s[16:17], vcc
	s_cbranch_execz .LBB1_344
; %bb.341:                              ;   in Loop: Header=BB1_283 Depth=1
	s_mov_b64 s[18:19], 0
.LBB1_342:                              ;   Parent Loop BB1_283 Depth=1
                                        ; =>  This Inner Loop Header: Depth=2
	s_sleep 1
	global_load_dwordx2 v[22:23], v29, s[10:11] offset:40
	global_load_dwordx2 v[32:33], v29, s[10:11]
	v_mov_b32_e32 v25, v7
	v_mov_b32_e32 v24, v6
	s_waitcnt vmcnt(1)
	v_and_b32_e32 v6, v22, v24
	s_waitcnt vmcnt(0)
	v_mad_u64_u32 v[6:7], s[20:21], v6, 24, v[32:33]
	v_and_b32_e32 v22, v23, v25
	v_mad_u64_u32 v[22:23], s[20:21], v22, 24, v[7:8]
	v_mov_b32_e32 v7, v22
	global_load_dwordx2 v[22:23], v[6:7], off glc
	s_waitcnt vmcnt(0)
	global_atomic_cmpswap_x2 v[6:7], v29, v[22:25], s[10:11] offset:24 glc
	s_waitcnt vmcnt(0)
	buffer_wbinvl1_vol
	v_cmp_eq_u64_e32 vcc, v[6:7], v[24:25]
	s_or_b64 s[18:19], vcc, s[18:19]
	s_andn2_b64 exec, exec, s[18:19]
	s_cbranch_execnz .LBB1_342
; %bb.343:                              ;   in Loop: Header=BB1_283 Depth=1
	s_or_b64 exec, exec, s[18:19]
.LBB1_344:                              ;   in Loop: Header=BB1_283 Depth=1
	s_or_b64 exec, exec, s[16:17]
.LBB1_345:                              ;   in Loop: Header=BB1_283 Depth=1
	s_or_b64 exec, exec, s[14:15]
	global_load_dwordx2 v[32:33], v29, s[10:11] offset:40
	global_load_dwordx4 v[22:25], v29, s[10:11]
	v_readfirstlane_b32 s15, v7
	v_readfirstlane_b32 s14, v6
	s_mov_b64 s[16:17], exec
	s_waitcnt vmcnt(1)
	v_readfirstlane_b32 s18, v32
	v_readfirstlane_b32 s19, v33
	s_and_b64 s[18:19], s[18:19], s[14:15]
	s_mul_i32 s20, s19, 24
	s_mul_hi_u32 s21, s18, 24
	s_mul_i32 s24, s18, 24
	s_add_i32 s20, s21, s20
	v_mov_b32_e32 v6, s20
	s_waitcnt vmcnt(0)
	v_add_co_u32_e32 v32, vcc, s24, v22
	v_addc_co_u32_e32 v33, vcc, v23, v6, vcc
	s_and_saveexec_b64 s[20:21], s[4:5]
	s_cbranch_execz .LBB1_347
; %bb.346:                              ;   in Loop: Header=BB1_283 Depth=1
	v_mov_b32_e32 v6, s16
	v_mov_b32_e32 v7, s17
	global_store_dwordx4 v[32:33], v[6:9], off offset:8
.LBB1_347:                              ;   in Loop: Header=BB1_283 Depth=1
	s_or_b64 exec, exec, s[20:21]
	s_lshl_b64 s[16:17], s[18:19], 12
	v_mov_b32_e32 v6, s17
	v_add_co_u32_e32 v24, vcc, s16, v24
	v_addc_co_u32_e32 v25, vcc, v25, v6, vcc
	v_cmp_gt_u64_e32 vcc, 57, v[26:27]
	v_and_b32_e32 v0, 0xffffff1f, v0
	v_cndmask_b32_e32 v6, 0, v36, vcc
	v_lshl_add_u32 v7, v30, 2, 28
	v_or_b32_e32 v0, v0, v6
	v_and_or_b32 v0, v7, s23, v0
	v_readfirstlane_b32 s16, v24
	v_readfirstlane_b32 s17, v25
	s_nop 4
	global_store_dwordx4 v35, v[0:3], s[16:17]
	global_store_dwordx4 v35, v[10:13], s[16:17] offset:16
	global_store_dwordx4 v35, v[14:17], s[16:17] offset:32
	;; [unrolled: 1-line block ×3, first 2 shown]
	s_and_saveexec_b64 s[16:17], s[4:5]
	s_cbranch_execz .LBB1_355
; %bb.348:                              ;   in Loop: Header=BB1_283 Depth=1
	global_load_dwordx2 v[12:13], v29, s[10:11] offset:32 glc
	global_load_dwordx2 v[0:1], v29, s[10:11] offset:40
	v_mov_b32_e32 v10, s14
	v_mov_b32_e32 v11, s15
	s_waitcnt vmcnt(0)
	v_readfirstlane_b32 s18, v0
	v_readfirstlane_b32 s19, v1
	s_and_b64 s[18:19], s[18:19], s[14:15]
	s_mul_i32 s19, s19, 24
	s_mul_hi_u32 s20, s18, 24
	s_mul_i32 s18, s18, 24
	s_add_i32 s19, s20, s19
	v_mov_b32_e32 v0, s19
	v_add_co_u32_e32 v6, vcc, s18, v22
	v_addc_co_u32_e32 v7, vcc, v23, v0, vcc
	global_store_dwordx2 v[6:7], v[12:13], off
	s_waitcnt vmcnt(0)
	global_atomic_cmpswap_x2 v[2:3], v29, v[10:13], s[10:11] offset:32 glc
	s_waitcnt vmcnt(0)
	v_cmp_ne_u64_e32 vcc, v[2:3], v[12:13]
	s_and_saveexec_b64 s[18:19], vcc
	s_cbranch_execz .LBB1_351
; %bb.349:                              ;   in Loop: Header=BB1_283 Depth=1
	s_mov_b64 s[20:21], 0
.LBB1_350:                              ;   Parent Loop BB1_283 Depth=1
                                        ; =>  This Inner Loop Header: Depth=2
	s_sleep 1
	global_store_dwordx2 v[6:7], v[2:3], off
	v_mov_b32_e32 v0, s14
	v_mov_b32_e32 v1, s15
	s_waitcnt vmcnt(0)
	global_atomic_cmpswap_x2 v[0:1], v29, v[0:3], s[10:11] offset:32 glc
	s_waitcnt vmcnt(0)
	v_cmp_eq_u64_e32 vcc, v[0:1], v[2:3]
	v_mov_b32_e32 v3, v1
	s_or_b64 s[20:21], vcc, s[20:21]
	v_mov_b32_e32 v2, v0
	s_andn2_b64 exec, exec, s[20:21]
	s_cbranch_execnz .LBB1_350
.LBB1_351:                              ;   in Loop: Header=BB1_283 Depth=1
	s_or_b64 exec, exec, s[18:19]
	global_load_dwordx2 v[0:1], v29, s[10:11] offset:16
	s_mov_b64 s[20:21], exec
	v_mbcnt_lo_u32_b32 v2, s20, 0
	v_mbcnt_hi_u32_b32 v2, s21, v2
	v_cmp_eq_u32_e32 vcc, 0, v2
	s_and_saveexec_b64 s[18:19], vcc
	s_cbranch_execz .LBB1_353
; %bb.352:                              ;   in Loop: Header=BB1_283 Depth=1
	s_bcnt1_i32_b64 s20, s[20:21]
	v_mov_b32_e32 v28, s20
	s_waitcnt vmcnt(0)
	global_atomic_add_x2 v[0:1], v[28:29], off offset:8
.LBB1_353:                              ;   in Loop: Header=BB1_283 Depth=1
	s_or_b64 exec, exec, s[18:19]
	s_waitcnt vmcnt(0)
	global_load_dwordx2 v[2:3], v[0:1], off offset:16
	s_waitcnt vmcnt(0)
	v_cmp_eq_u64_e32 vcc, 0, v[2:3]
	s_cbranch_vccnz .LBB1_355
; %bb.354:                              ;   in Loop: Header=BB1_283 Depth=1
	global_load_dword v28, v[0:1], off offset:24
	s_waitcnt vmcnt(0)
	v_readfirstlane_b32 s18, v28
	s_and_b32 m0, s18, 0xffffff
	global_store_dwordx2 v[2:3], v[28:29], off
	s_sendmsg sendmsg(MSG_INTERRUPT)
.LBB1_355:                              ;   in Loop: Header=BB1_283 Depth=1
	s_or_b64 exec, exec, s[16:17]
	v_add_co_u32_e32 v0, vcc, v24, v35
	v_addc_co_u32_e32 v1, vcc, 0, v25, vcc
	s_branch .LBB1_359
.LBB1_356:                              ;   in Loop: Header=BB1_359 Depth=2
	s_or_b64 exec, exec, s[16:17]
	v_readfirstlane_b32 s16, v2
	s_cmp_eq_u32 s16, 0
	s_cbranch_scc1 .LBB1_358
; %bb.357:                              ;   in Loop: Header=BB1_359 Depth=2
	s_sleep 1
	s_cbranch_execnz .LBB1_359
	s_branch .LBB1_361
.LBB1_358:                              ;   in Loop: Header=BB1_283 Depth=1
	s_branch .LBB1_361
.LBB1_359:                              ;   Parent Loop BB1_283 Depth=1
                                        ; =>  This Inner Loop Header: Depth=2
	v_mov_b32_e32 v2, 1
	s_and_saveexec_b64 s[16:17], s[4:5]
	s_cbranch_execz .LBB1_356
; %bb.360:                              ;   in Loop: Header=BB1_359 Depth=2
	global_load_dword v2, v[32:33], off offset:20 glc
	s_waitcnt vmcnt(0)
	buffer_wbinvl1_vol
	v_and_b32_e32 v2, 1, v2
	s_branch .LBB1_356
.LBB1_361:                              ;   in Loop: Header=BB1_283 Depth=1
	global_load_dwordx2 v[0:1], v[0:1], off
	s_and_saveexec_b64 s[16:17], s[4:5]
	s_cbranch_execz .LBB1_282
; %bb.362:                              ;   in Loop: Header=BB1_283 Depth=1
	global_load_dwordx2 v[2:3], v29, s[10:11] offset:40
	global_load_dwordx2 v[14:15], v29, s[10:11] offset:24 glc
	global_load_dwordx2 v[6:7], v29, s[10:11]
	s_waitcnt vmcnt(2)
	v_readfirstlane_b32 s18, v2
	v_readfirstlane_b32 s19, v3
	s_add_u32 s20, s18, 1
	s_addc_u32 s21, s19, 0
	s_add_u32 s4, s20, s14
	s_addc_u32 s5, s21, s15
	s_cmp_eq_u64 s[4:5], 0
	s_cselect_b32 s5, s21, s5
	s_cselect_b32 s4, s20, s4
	s_and_b64 s[14:15], s[4:5], s[18:19]
	s_mul_i32 s15, s15, 24
	s_mul_hi_u32 s18, s14, 24
	s_mul_i32 s14, s14, 24
	s_add_i32 s15, s18, s15
	v_mov_b32_e32 v3, s15
	s_waitcnt vmcnt(0)
	v_add_co_u32_e32 v2, vcc, s14, v6
	v_addc_co_u32_e32 v3, vcc, v7, v3, vcc
	v_mov_b32_e32 v12, s4
	global_store_dwordx2 v[2:3], v[14:15], off
	v_mov_b32_e32 v13, s5
	s_waitcnt vmcnt(0)
	global_atomic_cmpswap_x2 v[12:13], v29, v[12:15], s[10:11] offset:24 glc
	s_waitcnt vmcnt(0)
	v_cmp_ne_u64_e32 vcc, v[12:13], v[14:15]
	s_and_b64 exec, exec, vcc
	s_cbranch_execz .LBB1_282
; %bb.363:                              ;   in Loop: Header=BB1_283 Depth=1
	s_mov_b64 s[14:15], 0
.LBB1_364:                              ;   Parent Loop BB1_283 Depth=1
                                        ; =>  This Inner Loop Header: Depth=2
	s_sleep 1
	global_store_dwordx2 v[2:3], v[12:13], off
	v_mov_b32_e32 v10, s4
	v_mov_b32_e32 v11, s5
	s_waitcnt vmcnt(0)
	global_atomic_cmpswap_x2 v[6:7], v29, v[10:13], s[10:11] offset:24 glc
	s_waitcnt vmcnt(0)
	v_cmp_eq_u64_e32 vcc, v[6:7], v[12:13]
	v_mov_b32_e32 v13, v7
	s_or_b64 s[14:15], vcc, s[14:15]
	v_mov_b32_e32 v12, v6
	s_andn2_b64 exec, exec, s[14:15]
	s_cbranch_execnz .LBB1_364
	s_branch .LBB1_282
.LBB1_365:
	s_or_b64 exec, exec, s[12:13]
                                        ; implicit-def: $vgpr35
                                        ; implicit-def: $vgpr34
.LBB1_366:
	s_andn2_saveexec_b64 s[6:7], s[6:7]
	s_cbranch_execz .LBB1_393
; %bb.367:
	v_readfirstlane_b32 s4, v34
	v_mov_b32_e32 v8, 0
	v_mov_b32_e32 v9, 0
	v_cmp_eq_u32_e64 s[4:5], s4, v34
	s_and_saveexec_b64 s[12:13], s[4:5]
	s_cbranch_execz .LBB1_373
; %bb.368:
	v_mov_b32_e32 v2, 0
	global_load_dwordx2 v[5:6], v2, s[10:11] offset:24 glc
	s_waitcnt vmcnt(0)
	buffer_wbinvl1_vol
	global_load_dwordx2 v[3:4], v2, s[10:11] offset:40
	global_load_dwordx2 v[7:8], v2, s[10:11]
	s_waitcnt vmcnt(1)
	v_and_b32_e32 v3, v3, v5
	v_and_b32_e32 v4, v4, v6
	v_mul_lo_u32 v4, v4, 24
	v_mul_hi_u32 v9, v3, 24
	v_mul_lo_u32 v3, v3, 24
	v_add_u32_e32 v4, v9, v4
	s_waitcnt vmcnt(0)
	v_add_co_u32_e32 v3, vcc, v7, v3
	v_addc_co_u32_e32 v4, vcc, v8, v4, vcc
	global_load_dwordx2 v[3:4], v[3:4], off glc
	s_waitcnt vmcnt(0)
	global_atomic_cmpswap_x2 v[8:9], v2, v[3:6], s[10:11] offset:24 glc
	s_waitcnt vmcnt(0)
	buffer_wbinvl1_vol
	v_cmp_ne_u64_e32 vcc, v[8:9], v[5:6]
	s_and_saveexec_b64 s[14:15], vcc
	s_cbranch_execz .LBB1_372
; %bb.369:
	s_mov_b64 s[16:17], 0
.LBB1_370:                              ; =>This Inner Loop Header: Depth=1
	s_sleep 1
	global_load_dwordx2 v[3:4], v2, s[10:11] offset:40
	global_load_dwordx2 v[10:11], v2, s[10:11]
	v_mov_b32_e32 v5, v8
	v_mov_b32_e32 v6, v9
	s_waitcnt vmcnt(1)
	v_and_b32_e32 v3, v3, v5
	s_waitcnt vmcnt(0)
	v_mad_u64_u32 v[7:8], s[18:19], v3, 24, v[10:11]
	v_and_b32_e32 v4, v4, v6
	v_mov_b32_e32 v3, v8
	v_mad_u64_u32 v[3:4], s[18:19], v4, 24, v[3:4]
	v_mov_b32_e32 v8, v3
	global_load_dwordx2 v[3:4], v[7:8], off glc
	s_waitcnt vmcnt(0)
	global_atomic_cmpswap_x2 v[8:9], v2, v[3:6], s[10:11] offset:24 glc
	s_waitcnt vmcnt(0)
	buffer_wbinvl1_vol
	v_cmp_eq_u64_e32 vcc, v[8:9], v[5:6]
	s_or_b64 s[16:17], vcc, s[16:17]
	s_andn2_b64 exec, exec, s[16:17]
	s_cbranch_execnz .LBB1_370
; %bb.371:
	s_or_b64 exec, exec, s[16:17]
.LBB1_372:
	s_or_b64 exec, exec, s[14:15]
.LBB1_373:
	s_or_b64 exec, exec, s[12:13]
	v_mov_b32_e32 v2, 0
	global_load_dwordx2 v[10:11], v2, s[10:11] offset:40
	global_load_dwordx4 v[4:7], v2, s[10:11]
	v_readfirstlane_b32 s13, v9
	v_readfirstlane_b32 s12, v8
	s_mov_b64 s[14:15], exec
	s_waitcnt vmcnt(1)
	v_readfirstlane_b32 s16, v10
	v_readfirstlane_b32 s17, v11
	s_and_b64 s[16:17], s[16:17], s[12:13]
	s_mul_i32 s18, s17, 24
	s_mul_hi_u32 s19, s16, 24
	s_mul_i32 s20, s16, 24
	s_add_i32 s18, s19, s18
	v_mov_b32_e32 v3, s18
	s_waitcnt vmcnt(0)
	v_add_co_u32_e32 v8, vcc, s20, v4
	v_addc_co_u32_e32 v9, vcc, v5, v3, vcc
	s_and_saveexec_b64 s[18:19], s[4:5]
	s_cbranch_execz .LBB1_375
; %bb.374:
	v_mov_b32_e32 v10, s14
	v_mov_b32_e32 v11, s15
	;; [unrolled: 1-line block ×4, first 2 shown]
	global_store_dwordx4 v[8:9], v[10:13], off offset:8
.LBB1_375:
	s_or_b64 exec, exec, s[18:19]
	s_lshl_b64 s[14:15], s[16:17], 12
	v_mov_b32_e32 v3, s15
	v_add_co_u32_e32 v10, vcc, s14, v6
	v_addc_co_u32_e32 v11, vcc, v7, v3, vcc
	s_movk_i32 s14, 0xff1f
	v_and_or_b32 v0, v0, s14, 32
	s_mov_b32 s16, 0
	v_mov_b32_e32 v3, v2
	v_readfirstlane_b32 s14, v10
	v_readfirstlane_b32 s15, v11
	v_add_co_u32_e32 v6, vcc, v10, v35
	s_mov_b32 s17, s16
	s_mov_b32 s18, s16
	s_mov_b32 s19, s16
	s_nop 0
	global_store_dwordx4 v35, v[0:3], s[14:15]
	v_addc_co_u32_e32 v7, vcc, 0, v11, vcc
	v_mov_b32_e32 v0, s16
	v_mov_b32_e32 v1, s17
	;; [unrolled: 1-line block ×4, first 2 shown]
	global_store_dwordx4 v35, v[0:3], s[14:15] offset:16
	global_store_dwordx4 v35, v[0:3], s[14:15] offset:32
	;; [unrolled: 1-line block ×3, first 2 shown]
	s_and_saveexec_b64 s[14:15], s[4:5]
	s_cbranch_execz .LBB1_383
; %bb.376:
	v_mov_b32_e32 v10, 0
	global_load_dwordx2 v[13:14], v10, s[10:11] offset:32 glc
	global_load_dwordx2 v[0:1], v10, s[10:11] offset:40
	v_mov_b32_e32 v11, s12
	v_mov_b32_e32 v12, s13
	s_waitcnt vmcnt(0)
	v_readfirstlane_b32 s16, v0
	v_readfirstlane_b32 s17, v1
	s_and_b64 s[16:17], s[16:17], s[12:13]
	s_mul_i32 s17, s17, 24
	s_mul_hi_u32 s18, s16, 24
	s_mul_i32 s16, s16, 24
	s_add_i32 s17, s18, s17
	v_mov_b32_e32 v0, s17
	v_add_co_u32_e32 v4, vcc, s16, v4
	v_addc_co_u32_e32 v5, vcc, v5, v0, vcc
	global_store_dwordx2 v[4:5], v[13:14], off
	s_waitcnt vmcnt(0)
	global_atomic_cmpswap_x2 v[2:3], v10, v[11:14], s[10:11] offset:32 glc
	s_waitcnt vmcnt(0)
	v_cmp_ne_u64_e32 vcc, v[2:3], v[13:14]
	s_and_saveexec_b64 s[16:17], vcc
	s_cbranch_execz .LBB1_379
; %bb.377:
	s_mov_b64 s[18:19], 0
.LBB1_378:                              ; =>This Inner Loop Header: Depth=1
	s_sleep 1
	global_store_dwordx2 v[4:5], v[2:3], off
	v_mov_b32_e32 v0, s12
	v_mov_b32_e32 v1, s13
	s_waitcnt vmcnt(0)
	global_atomic_cmpswap_x2 v[0:1], v10, v[0:3], s[10:11] offset:32 glc
	s_waitcnt vmcnt(0)
	v_cmp_eq_u64_e32 vcc, v[0:1], v[2:3]
	v_mov_b32_e32 v3, v1
	s_or_b64 s[18:19], vcc, s[18:19]
	v_mov_b32_e32 v2, v0
	s_andn2_b64 exec, exec, s[18:19]
	s_cbranch_execnz .LBB1_378
.LBB1_379:
	s_or_b64 exec, exec, s[16:17]
	v_mov_b32_e32 v3, 0
	global_load_dwordx2 v[0:1], v3, s[10:11] offset:16
	s_mov_b64 s[16:17], exec
	v_mbcnt_lo_u32_b32 v2, s16, 0
	v_mbcnt_hi_u32_b32 v2, s17, v2
	v_cmp_eq_u32_e32 vcc, 0, v2
	s_and_saveexec_b64 s[18:19], vcc
	s_cbranch_execz .LBB1_381
; %bb.380:
	s_bcnt1_i32_b64 s16, s[16:17]
	v_mov_b32_e32 v2, s16
	s_waitcnt vmcnt(0)
	global_atomic_add_x2 v[0:1], v[2:3], off offset:8
.LBB1_381:
	s_or_b64 exec, exec, s[18:19]
	s_waitcnt vmcnt(0)
	global_load_dwordx2 v[2:3], v[0:1], off offset:16
	s_waitcnt vmcnt(0)
	v_cmp_eq_u64_e32 vcc, 0, v[2:3]
	s_cbranch_vccnz .LBB1_383
; %bb.382:
	global_load_dword v0, v[0:1], off offset:24
	v_mov_b32_e32 v1, 0
	s_waitcnt vmcnt(0)
	v_readfirstlane_b32 s16, v0
	s_and_b32 m0, s16, 0xffffff
	global_store_dwordx2 v[2:3], v[0:1], off
	s_sendmsg sendmsg(MSG_INTERRUPT)
.LBB1_383:
	s_or_b64 exec, exec, s[14:15]
	s_branch .LBB1_387
.LBB1_384:                              ;   in Loop: Header=BB1_387 Depth=1
	s_or_b64 exec, exec, s[14:15]
	v_readfirstlane_b32 s14, v0
	s_cmp_eq_u32 s14, 0
	s_cbranch_scc1 .LBB1_386
; %bb.385:                              ;   in Loop: Header=BB1_387 Depth=1
	s_sleep 1
	s_cbranch_execnz .LBB1_387
	s_branch .LBB1_389
.LBB1_386:
	s_branch .LBB1_389
.LBB1_387:                              ; =>This Inner Loop Header: Depth=1
	v_mov_b32_e32 v0, 1
	s_and_saveexec_b64 s[14:15], s[4:5]
	s_cbranch_execz .LBB1_384
; %bb.388:                              ;   in Loop: Header=BB1_387 Depth=1
	global_load_dword v0, v[8:9], off offset:20 glc
	s_waitcnt vmcnt(0)
	buffer_wbinvl1_vol
	v_and_b32_e32 v0, 1, v0
	s_branch .LBB1_384
.LBB1_389:
	global_load_dwordx2 v[0:1], v[6:7], off
	s_and_saveexec_b64 s[14:15], s[4:5]
	s_cbranch_execz .LBB1_392
; %bb.390:
	v_mov_b32_e32 v8, 0
	global_load_dwordx2 v[2:3], v8, s[10:11] offset:40
	global_load_dwordx2 v[11:12], v8, s[10:11] offset:24 glc
	global_load_dwordx2 v[4:5], v8, s[10:11]
	s_waitcnt vmcnt(2)
	v_readfirstlane_b32 s16, v2
	v_readfirstlane_b32 s17, v3
	s_add_u32 s18, s16, 1
	s_addc_u32 s19, s17, 0
	s_add_u32 s4, s18, s12
	s_addc_u32 s5, s19, s13
	s_cmp_eq_u64 s[4:5], 0
	s_cselect_b32 s5, s19, s5
	s_cselect_b32 s4, s18, s4
	s_and_b64 s[12:13], s[4:5], s[16:17]
	s_mul_i32 s13, s13, 24
	s_mul_hi_u32 s16, s12, 24
	s_mul_i32 s12, s12, 24
	s_add_i32 s13, s16, s13
	v_mov_b32_e32 v2, s13
	s_waitcnt vmcnt(0)
	v_add_co_u32_e32 v6, vcc, s12, v4
	v_addc_co_u32_e32 v7, vcc, v5, v2, vcc
	v_mov_b32_e32 v9, s4
	global_store_dwordx2 v[6:7], v[11:12], off
	v_mov_b32_e32 v10, s5
	s_waitcnt vmcnt(0)
	global_atomic_cmpswap_x2 v[4:5], v8, v[9:12], s[10:11] offset:24 glc
	s_mov_b64 s[12:13], 0
	s_waitcnt vmcnt(0)
	v_cmp_ne_u64_e32 vcc, v[4:5], v[11:12]
	s_and_b64 exec, exec, vcc
	s_cbranch_execz .LBB1_392
.LBB1_391:                              ; =>This Inner Loop Header: Depth=1
	s_sleep 1
	global_store_dwordx2 v[6:7], v[4:5], off
	v_mov_b32_e32 v2, s4
	v_mov_b32_e32 v3, s5
	s_waitcnt vmcnt(0)
	global_atomic_cmpswap_x2 v[2:3], v8, v[2:5], s[10:11] offset:24 glc
	s_waitcnt vmcnt(0)
	v_cmp_eq_u64_e32 vcc, v[2:3], v[4:5]
	v_mov_b32_e32 v5, v3
	s_or_b64 s[12:13], vcc, s[12:13]
	v_mov_b32_e32 v4, v2
	s_andn2_b64 exec, exec, s[12:13]
	s_cbranch_execnz .LBB1_391
.LBB1_392:
	s_or_b64 exec, exec, s[14:15]
.LBB1_393:
	s_or_b64 exec, exec, s[6:7]
	s_getpc_b64 s[4:5]
	s_add_u32 s4, s4, .str.3@rel32@lo+4
	s_addc_u32 s5, s5, .str.3@rel32@hi+12
	s_getpc_b64 s[6:7]
	s_add_u32 s6, s6, .str.3@rel32@lo+32
	s_addc_u32 s7, s7, .str.3@rel32@hi+40
	s_sub_i32 s10, s6, s4
	s_ashr_i32 s11, s10, 31
	s_getpc_b64 s[6:7]
	s_add_u32 s6, s6, __ockl_fprintf_append_string_n@rel32@lo+4
	s_addc_u32 s7, s7, __ockl_fprintf_append_string_n@rel32@hi+12
	v_mov_b32_e32 v2, s4
	v_mov_b32_e32 v3, s5
	;; [unrolled: 1-line block ×5, first 2 shown]
	s_swappc_b64 s[30:31], s[6:7]
	s_trap 2
.Lfunc_end1:
	.size	__assert_fail, .Lfunc_end1-__assert_fail
                                        ; -- End function
	.set .L__assert_fail.num_vgpr, max(41, .L__ockl_fprintf_append_string_n.num_vgpr)
	.set .L__assert_fail.num_agpr, max(0, .L__ockl_fprintf_append_string_n.num_agpr)
	.set .L__assert_fail.numbered_sgpr, max(34, .L__ockl_fprintf_append_string_n.numbered_sgpr)
	.set .L__assert_fail.num_named_barrier, max(0, .L__ockl_fprintf_append_string_n.num_named_barrier)
	.set .L__assert_fail.private_seg_size, 64+max(.L__ockl_fprintf_append_string_n.private_seg_size)
	.set .L__assert_fail.uses_vcc, or(1, .L__ockl_fprintf_append_string_n.uses_vcc)
	.set .L__assert_fail.uses_flat_scratch, or(0, .L__ockl_fprintf_append_string_n.uses_flat_scratch)
	.set .L__assert_fail.has_dyn_sized_stack, or(0, .L__ockl_fprintf_append_string_n.has_dyn_sized_stack)
	.set .L__assert_fail.has_recursion, or(0, .L__ockl_fprintf_append_string_n.has_recursion)
	.set .L__assert_fail.has_indirect_call, or(0, .L__ockl_fprintf_append_string_n.has_indirect_call)
	.section	.AMDGPU.csdata,"",@progbits
; Function info:
; codeLenInByte = 13844
; TotalNumSgprs: 38
; NumVgprs: 41
; ScratchSize: 64
; MemoryBound: 0
	.text
	.p2align	2                               ; -- Begin function _ZN12_GLOBAL__N_17runRingI6__half7FuncSumIS1_E11ProtoSimpleILi1ELi1ELi0ELi1ELi0ELi0EELi0ELi1ELi0EEEviiP15ncclDevWorkColl
	.type	_ZN12_GLOBAL__N_17runRingI6__half7FuncSumIS1_E11ProtoSimpleILi1ELi1ELi0ELi1ELi0ELi0EELi0ELi1ELi0EEEviiP15ncclDevWorkColl,@function
_ZN12_GLOBAL__N_17runRingI6__half7FuncSumIS1_E11ProtoSimpleILi1ELi1ELi0ELi1ELi0ELi0EELi0ELi1ELi0EEEviiP15ncclDevWorkColl: ; @_ZN12_GLOBAL__N_17runRingI6__half7FuncSumIS1_E11ProtoSimpleILi1ELi1ELi0ELi1ELi0ELi0EELi0ELi1ELi0EEEviiP15ncclDevWorkColl
; %bb.0:
	s_waitcnt vmcnt(0) expcnt(0) lgkmcnt(0)
	s_mov_b32 s4, s33
	s_mov_b32 s33, s32
	s_or_saveexec_b64 s[6:7], -1
	buffer_store_dword v63, off, s[0:3], s33 offset:96 ; 4-byte Folded Spill
	s_mov_b64 exec, s[6:7]
	v_writelane_b32 v63, s4, 4
	s_addk_i32 s32, 0x1c00
	buffer_store_dword v40, off, s[0:3], s33 offset:56 ; 4-byte Folded Spill
	buffer_store_dword v41, off, s[0:3], s33 offset:52 ; 4-byte Folded Spill
	;; [unrolled: 1-line block ×14, first 2 shown]
	buffer_store_dword v62, off, s[0:3], s33 ; 4-byte Folded Spill
	v_writelane_b32 v63, s34, 0
	v_writelane_b32 v63, s35, 1
	;; [unrolled: 1-line block ×4, first 2 shown]
	s_trap 2
	ds_read_b64 v[26:27], v0
	ds_read_b32 v6, v0
	flat_load_ushort v28, v[2:3] offset:8
	flat_load_dwordx2 v[8:9], v[2:3]
                                        ; implicit-def: $vgpr29_vgpr30
                                        ; implicit-def: $vgpr54_vgpr55
	s_waitcnt lgkmcnt(0)
	v_ashrrev_i32_e32 v5, 31, v27
	v_mov_b32_e32 v4, v27
	v_lshlrev_b64 v[4:5], 2, v[4:5]
	v_add_co_u32_e32 v4, vcc, v26, v4
	v_addc_co_u32_e32 v5, vcc, v27, v5, vcc
	v_add_co_u32_e32 v4, vcc, -4, v4
	v_addc_co_u32_e32 v5, vcc, -1, v5, vcc
	flat_load_dword v37, v[4:5]
                                        ; implicit-def: $vgpr4_vgpr5
	s_waitcnt vmcnt(0)
	v_mov_b32_e32 v27, v9
	v_cmp_ne_u32_sdwa s[4:5], v6, v8 src0_sel:DWORD src1_sel:BYTE_0
	s_and_saveexec_b64 s[6:7], s[4:5]
	s_xor_b64 s[4:5], exec, s[6:7]
	s_cbranch_execz .LBB2_6
; %bb.1:
	v_not_b32_sdwa v9, v8 dst_sel:DWORD dst_unused:UNUSED_PAD src0_sel:BYTE_0
	v_cmp_ne_u32_sdwa s[6:7], v6, v8 src0_sel:DWORD src1_sel:BYTE_1
                                        ; implicit-def: $vgpr29_vgpr30
                                        ; implicit-def: $vgpr4_vgpr5
                                        ; implicit-def: $vgpr54_vgpr55
	s_and_saveexec_b64 s[10:11], s[6:7]
	s_xor_b64 s[6:7], exec, s[10:11]
	s_cbranch_execz .LBB2_3
; %bb.2:
	flat_load_dwordx4 v[10:13], v[2:3] offset:72
	flat_load_dwordx2 v[4:5], v[2:3] offset:96
	v_add_u32_e32 v6, v6, v9
	v_ashrrev_i32_e32 v7, 31, v6
                                        ; implicit-def: $vgpr8
                                        ; implicit-def: $vgpr9
	s_waitcnt vmcnt(0) lgkmcnt(0)
	v_mul_lo_u32 v7, v12, v7
	v_mad_u64_u32 v[54:55], s[10:11], v12, v6, v[10:11]
	v_mul_lo_u32 v6, v13, v6
	v_lshrrev_b64 v[29:30], 13, v[4:5]
	v_mov_b32_e32 v4, v12
	v_mov_b32_e32 v5, v13
	v_add3_u32 v55, v6, v55, v7
.LBB2_3:
	s_andn2_saveexec_b64 s[6:7], s[6:7]
	s_cbranch_execz .LBB2_5
; %bb.4:
	flat_load_dwordx4 v[10:13], v[2:3] offset:72
	flat_load_dwordx4 v[4:7], v[2:3] offset:88
	s_waitcnt vmcnt(0) lgkmcnt(0)
	v_add_u32_sdwa v6, v8, v9 dst_sel:DWORD dst_unused:UNUSED_PAD src0_sel:BYTE_1 src1_sel:DWORD
	v_ashrrev_i32_e32 v8, 31, v6
	v_mul_lo_u32 v8, v12, v8
	v_mad_u64_u32 v[54:55], s[10:11], v12, v6, v[10:11]
	v_mul_lo_u32 v6, v13, v6
	v_lshrrev_b32_e32 v29, 2, v7
	v_add3_u32 v55, v6, v55, v8
.LBB2_5:
	s_or_b64 exec, exec, s[6:7]
.LBB2_6:
	s_andn2_saveexec_b64 s[4:5], s[4:5]
	s_cbranch_execz .LBB2_8
; %bb.7:
	flat_load_dwordx2 v[6:7], v[2:3] offset:96
	flat_load_dwordx2 v[4:5], v[2:3] offset:72
	v_mov_b32_e32 v54, 0
	v_mov_b32_e32 v55, 0
	s_waitcnt vmcnt(0) lgkmcnt(0)
	v_lshlrev_b64 v[29:30], 8, v[6:7]
.LBB2_8:
	s_or_b64 exec, exec, s[4:5]
	s_trap 2
	ds_read_b64 v[6:7], v0
	s_waitcnt lgkmcnt(0)
	v_cmp_ne_u32_e32 vcc, -1, v6
	v_cndmask_b32_e64 v36, 0, 1, vcc
	v_cmp_ne_u32_e32 vcc, -1, v7
	v_addc_co_u32_e64 v6, s[4:5], 0, v36, vcc
	v_lshlrev_b32_e32 v7, 1, v6
	v_cmp_le_u32_e64 s[4:5], v7, v1
	s_and_saveexec_b64 s[6:7], s[4:5]
	s_xor_b64 s[22:23], exec, s[6:7]
	s_cbranch_execz .LBB2_601
; %bb.9:
	flat_load_dwordx4 v[10:13], v[2:3] offset:16
	flat_load_dwordx2 v[32:33], v[2:3] offset:104
	s_trap 2
	s_load_dword s4, s[8:9], 0x0
	v_mov_b32_e32 v2, 0
	v_mov_b32_e32 v53, 4
	s_waitcnt lgkmcnt(0)
	s_cmp_lt_u32 s12, s4
	s_cselect_b32 s4, 12, 18
	s_add_u32 s4, s8, s4
	s_addc_u32 s5, s9, 0
	global_load_ushort v62, v2, s[4:5]
	ds_read_b32 v2, v0
	v_cmp_ge_i32_e64 s[4:5], v0, v36
	s_waitcnt lgkmcnt(0)
	v_readfirstlane_b32 s12, v2
	s_and_saveexec_b64 s[6:7], s[4:5]
	s_cbranch_execz .LBB2_19
; %bb.10:
	v_cmp_ge_u32_e64 s[4:5], v0, v6
                                        ; implicit-def: $vgpr53
	s_and_saveexec_b64 s[10:11], s[4:5]
	s_xor_b64 s[4:5], exec, s[10:11]
	s_cbranch_execz .LBB2_16
; %bb.11:
	v_cndmask_b32_e64 v2, 0, 1, vcc
	v_sub_u32_e32 v2, v1, v2
	v_cmp_ge_u32_e32 vcc, v0, v2
	s_and_saveexec_b64 s[10:11], vcc
	s_xor_b64 s[10:11], exec, s[10:11]
; %bb.12:
                                        ; implicit-def: $vgpr6
; %bb.13:
	s_or_saveexec_b64 s[10:11], s[10:11]
	v_mov_b32_e32 v53, 16
	s_xor_b64 exec, exec, s[10:11]
; %bb.14:
	v_sub_u32_e32 v2, v1, v6
	v_cmp_lt_i32_e32 vcc, v0, v2
	v_cndmask_b32_e64 v53, 32, 0, vcc
; %bb.15:
	s_or_b64 exec, exec, s[10:11]
.LBB2_16:
	s_andn2_saveexec_b64 s[4:5], s[4:5]
; %bb.17:
	v_mov_b32_e32 v53, 8
; %bb.18:
	s_or_b64 exec, exec, s[4:5]
.LBB2_19:
	s_or_b64 exec, exec, s[6:7]
	v_and_b32_e32 v2, 36, v53
	v_cmp_ne_u32_e32 vcc, 0, v2
	v_mov_b32_e32 v34, -1
	s_and_saveexec_b64 s[4:5], vcc
	s_cbranch_execz .LBB2_21
; %bb.20:
	s_trap 2
	ds_read_b32 v34, v0
.LBB2_21:
	s_or_b64 exec, exec, s[4:5]
	v_and_b32_e32 v2, 24, v53
	v_cmp_ne_u32_e64 s[4:5], 0, v2
	s_and_saveexec_b64 s[6:7], s[4:5]
	s_cbranch_execz .LBB2_23
; %bb.22:
	s_trap 2
	s_waitcnt lgkmcnt(0)
	ds_read_b32 v34, v0
.LBB2_23:
	s_or_b64 exec, exec, s[6:7]
	v_lshrrev_b64 v[2:3], 31, v[27:28]
	v_mov_b32_e32 v14, 0
	v_mov_b32_e32 v6, 0
	;; [unrolled: 1-line block ×3, first 2 shown]
	v_and_b32_e32 v28, 3, v2
	v_mov_b32_e32 v7, 0
	s_waitcnt lgkmcnt(0)
	v_ashrrev_i32_e32 v35, 31, v34
                                        ; implicit-def: $vgpr2_vgpr3
                                        ; kill: killed $vgpr2_vgpr3
                                        ; implicit-def: $vgpr61
                                        ; implicit-def: $vgpr22_vgpr23
                                        ; implicit-def: $vgpr20_vgpr21
                                        ; implicit-def: $vgpr18_vgpr19
	s_and_saveexec_b64 s[4:5], vcc
	s_cbranch_execz .LBB2_33
; %bb.24:
	s_trap 2
	ds_read_b64 v[2:3], v0
	v_lshlrev_b64 v[6:7], 3, v[34:35]
	s_movk_i32 s6, 0xa8
	s_waitcnt lgkmcnt(0)
	v_add_co_u32_e32 v2, vcc, v2, v6
	v_addc_co_u32_e32 v3, vcc, v3, v7, vcc
	flat_load_dwordx2 v[2:3], v[2:3]
	v_and_b32_e32 v6, 0xffff, v28
	s_waitcnt vmcnt(0) lgkmcnt(0)
	v_mad_u64_u32 v[24:25], s[6:7], v6, s6, v[2:3]
	flat_load_dword v2, v[24:25] offset:640
	s_waitcnt vmcnt(0) lgkmcnt(0)
	v_cmp_eq_u32_e32 vcc, 1, v2
                                        ; implicit-def: $vgpr2_vgpr3
                                        ; kill: killed $vgpr2_vgpr3
	s_and_saveexec_b64 s[6:7], vcc
	s_cbranch_execz .LBB2_26
; %bb.25:
	flat_load_dwordx2 v[6:7], v[24:25] offset:648
	v_or_b32_e32 v53, 0x2000, v53
	s_waitcnt vmcnt(0) lgkmcnt(0)
	flat_load_dwordx2 v[2:3], v[6:7]
	s_trap 2
	s_waitcnt vmcnt(0) lgkmcnt(0)
	ds_write_b64 v0, v[2:3]
	flat_load_dwordx2 v[2:3], v[6:7] offset:8
	s_waitcnt vmcnt(0) lgkmcnt(0)
	ds_write_b64 v0, v[2:3]
	buffer_store_dword v6, off, s[0:3], s33 offset:76 ; 4-byte Folded Spill
	s_nop 0
	buffer_store_dword v7, off, s[0:3], s33 offset:80 ; 4-byte Folded Spill
	flat_load_dwordx2 v[2:3], v[6:7] offset:16
	s_waitcnt vmcnt(0) lgkmcnt(0)
	ds_write_b64 v0, v[2:3]
.LBB2_26:
	s_or_b64 exec, exec, s[6:7]
	flat_load_dwordx2 v[8:9], v[24:25] offset:608
	v_and_b32_e32 v2, 32, v53
	v_cmp_ne_u32_e32 vcc, 0, v2
                                        ; implicit-def: $vgpr18_vgpr19
	s_and_saveexec_b64 s[6:7], vcc
	s_cbranch_execz .LBB2_28
; %bb.27:
	flat_load_dwordx2 v[18:19], v[24:25] offset:560
	s_waitcnt vmcnt(0) lgkmcnt(0)
	flat_store_dwordx2 v[18:19], v[8:9]
.LBB2_28:
	s_or_b64 exec, exec, s[6:7]
	v_add_co_u32_e32 v14, vcc, 0x1f8, v24
	v_addc_co_u32_e32 v15, vcc, 0, v25, vcc
	v_and_b32_e32 v2, 4, v53
	v_mov_b32_e32 v6, 0
	v_mov_b32_e32 v7, 0
	v_cmp_ne_u32_e32 vcc, 0, v2
                                        ; implicit-def: $vgpr61
                                        ; implicit-def: $vgpr22_vgpr23
                                        ; implicit-def: $vgpr20_vgpr21
	s_and_saveexec_b64 s[6:7], vcc
	s_cbranch_execz .LBB2_32
; %bb.29:
	v_and_b32_e32 v2, 0x800, v53
	v_cmp_eq_u32_e32 vcc, 0, v2
	s_and_saveexec_b64 s[10:11], vcc
	s_cbranch_execz .LBB2_31
; %bb.30:
	s_trap 2
	ds_write_b64 v0, v[14:15]
.LBB2_31:
	s_or_b64 exec, exec, s[10:11]
	flat_load_dwordx2 v[18:19], v[24:25] offset:552
	v_or_b32_e32 v3, 0x100, v53
	s_waitcnt vmcnt(0) lgkmcnt(0)
	flat_load_dwordx2 v[22:23], v[18:19] glc
	flat_load_dword v2, v[24:25] offset:576
	flat_load_dwordx2 v[6:7], v[24:25] offset:600
	flat_load_dwordx2 v[20:21], v[24:25] offset:520
	s_waitcnt vmcnt(0) lgkmcnt(0)
	v_ashrrev_i32_e32 v61, 1, v2
	v_cmp_eq_u64_e32 vcc, 0, v[6:7]
	v_cndmask_b32_e32 v53, v3, v53, vcc
.LBB2_32:
	s_or_b64 exec, exec, s[6:7]
.LBB2_33:
	s_or_b64 exec, exec, s[4:5]
	v_and_b32_e32 v2, 24, v53
	v_cmp_ne_u32_e32 vcc, 0, v2
                                        ; implicit-def: $vgpr24_vgpr25
	s_and_saveexec_b64 s[4:5], vcc
	s_cbranch_execz .LBB2_41
; %bb.34:
	s_trap 2
	ds_read_b64 v[2:3], v0
	v_lshlrev_b64 v[6:7], 3, v[34:35]
	s_movk_i32 s6, 0xa8
                                        ; implicit-def: $vgpr24_vgpr25
	s_waitcnt lgkmcnt(0)
	v_add_co_u32_e32 v2, vcc, v2, v6
	v_addc_co_u32_e32 v3, vcc, v3, v7, vcc
	flat_load_dwordx2 v[2:3], v[2:3]
	v_and_b32_e32 v6, 0xffff, v28
	s_waitcnt vmcnt(0) lgkmcnt(0)
	v_mad_u64_u32 v[14:15], s[6:7], v6, s6, v[2:3]
	v_or_b32_e32 v2, 0x100, v53
	flat_load_dwordx4 v[6:9], v[14:15] offset:96
	s_waitcnt vmcnt(0) lgkmcnt(0)
	v_cmp_eq_u64_e32 vcc, 0, v[6:7]
	v_cndmask_b32_e32 v53, v2, v53, vcc
	v_and_b32_e32 v2, 16, v53
	v_cmp_ne_u32_e32 vcc, 0, v2
	s_and_saveexec_b64 s[6:7], vcc
	s_cbranch_execz .LBB2_36
; %bb.35:
	flat_load_dwordx2 v[18:19], v[14:15] offset:48
	flat_load_dwordx2 v[24:25], v[14:15] offset:120
	flat_load_dwordx2 v[20:21], v[14:15] offset:16
.LBB2_36:
	s_or_b64 exec, exec, s[6:7]
	v_and_b32_e32 v2, 8, v53
	v_cmp_ne_u32_e32 vcc, 0, v2
	s_and_saveexec_b64 s[6:7], vcc
	s_cbranch_execz .LBB2_40
; %bb.37:
	v_and_b32_e32 v2, 0x800, v53
	v_cmp_eq_u32_e32 vcc, 0, v2
	s_and_saveexec_b64 s[10:11], vcc
	s_cbranch_execz .LBB2_39
; %bb.38:
	s_trap 2
	ds_write_b64 v0, v[14:15]
.LBB2_39:
	s_or_b64 exec, exec, s[10:11]
	s_waitcnt vmcnt(0) lgkmcnt(0)
	flat_load_dwordx2 v[18:19], v[14:15] offset:56
	s_waitcnt vmcnt(0) lgkmcnt(0)
	flat_load_dwordx2 v[22:23], v[18:19] glc
	flat_load_dword v2, v[14:15] offset:72
	flat_load_dwordx2 v[20:21], v[14:15] offset:16
	s_waitcnt vmcnt(0) lgkmcnt(0)
	v_ashrrev_i32_e32 v61, 1, v2
.LBB2_40:
	s_or_b64 exec, exec, s[6:7]
.LBB2_41:
	s_or_b64 exec, exec, s[4:5]
	v_cmp_eq_u32_e64 s[4:5], 0, v0
	s_and_saveexec_b64 s[6:7], s[4:5]
	s_cbranch_execz .LBB2_43
; %bb.42:
	s_waitcnt vmcnt(0)
	v_mov_b32_e32 v2, v12
	v_mov_b32_e32 v3, v13
	ds_write2_b64 v0, v[2:3], v[10:11] offset1:1
	v_mov_b32_e32 v2, 0
	v_mov_b32_e32 v3, v2
	s_trap 2
	ds_write_b64 v0, v[2:3]
	ds_write_b64 v0, v[32:33]
.LBB2_43:
	s_or_b64 exec, exec, s[6:7]
	s_ashr_i32 s6, s12, 31
	s_lshr_b32 s6, s6, 29
	s_add_i32 s12, s12, s6
	v_bfe_u32 v2, v27, 1, 30
	s_waitcnt vmcnt(0)
	v_and_b32_e32 v12, 0x1fffff00, v29
	v_mov_b32_e32 v13, 0
	s_ashr_i32 s30, s12, 4
	v_cmp_ne_u32_e32 vcc, v37, v2
                                        ; implicit-def: $vgpr10_vgpr11
	s_and_saveexec_b64 s[6:7], vcc
	s_xor_b64 s[24:25], exec, s[6:7]
	s_cbranch_execz .LBB2_393
; %bb.44:
	v_cmp_ne_u32_e32 vcc, v26, v2
                                        ; implicit-def: $vgpr10_vgpr11
	s_and_saveexec_b64 s[6:7], vcc
	s_xor_b64 s[26:27], exec, s[6:7]
	s_cbranch_execz .LBB2_224
; %bb.45:
	v_mov_b32_e32 v10, 0
	v_cmp_ne_u64_e32 vcc, 0, v[4:5]
	v_mov_b32_e32 v11, 0
	s_and_saveexec_b64 s[28:29], vcc
	s_cbranch_execz .LBB2_223
; %bb.46:
	v_and_b32_e32 v2, 63, v31
	v_cmp_eq_u32_e64 s[12:13], 0, v2
	v_ashrrev_i32_e32 v2, 31, v0
	v_lshrrev_b32_e32 v2, 26, v2
	v_add_u32_e32 v2, v0, v2
	v_and_b32_e32 v3, 0xffffffc0, v2
	v_ashrrev_i32_e32 v2, 6, v2
	v_sub_u32_e32 v2, 0, v2
	buffer_store_dword v14, off, s[0:3], s33 offset:60 ; 4-byte Folded Spill
	s_nop 0
	buffer_store_dword v15, off, s[0:3], s33 offset:64 ; 4-byte Folded Spill
	s_trap 2
	buffer_store_dword v2, off, s[0:3], s33 offset:84 ; 4-byte Folded Spill
	v_lshlrev_b32_e32 v2, 4, v0
	s_lshr_b32 s6, s30, 27
	v_ashrrev_i32_e32 v2, 31, v2
	s_add_i32 s6, s30, s6
	v_cmp_eq_u32_e32 vcc, 64, v1
	v_lshrrev_b32_e32 v39, 6, v1
	v_sub_u32_e32 v3, v0, v3
	buffer_store_dword v2, off, s[0:3], s33 offset:92 ; 4-byte Folded Spill
	v_lshlrev_b32_e32 v2, 1, v1
	s_waitcnt lgkmcnt(0)
	v_cmp_eq_u64_e64 s[18:19], 0, v[24:25]
	v_mov_b32_e32 v28, 0
	v_mov_b32_e32 v10, 0
	s_ashr_i32 s31, s6, 5
	v_cmp_ge_i32_e64 s[6:7], v0, v1
	v_ashrrev_i32_e32 v56, 31, v61
	v_cmp_ne_u32_e64 s[10:11], 64, v1
	v_cmp_ne_u32_sdwa s[40:41], v1, v62 src0_sel:DWORD src1_sel:WORD_0
	v_mov_b32_e32 v46, 0
	v_cmp_le_i32_e64 s[14:15], v3, v36
	v_cmp_lt_i32_e64 s[16:17], v3, v36
	v_lshlrev_b32_e32 v43, 10, v39
	v_lshlrev_b32_e32 v44, 9, v39
	v_and_b32_e32 v45, 0x7f80, v2
	s_mov_b64 s[42:43], 0
	v_mov_b32_e32 v29, 0
	v_mov_b32_e32 v11, 0
	s_movk_i32 s34, 0x108
	v_mov_b32_e32 v41, 1
	s_xor_b64 s[44:45], vcc, -1
	v_mov_b32_e32 v52, 0xc8
	v_mov_b32_e32 v40, 0x90
	buffer_store_dword v3, off, s[0:3], s33 offset:88 ; 4-byte Folded Spill
	buffer_store_dword v24, off, s[0:3], s33 offset:68 ; 4-byte Folded Spill
	s_nop 0
	buffer_store_dword v25, off, s[0:3], s33 offset:72 ; 4-byte Folded Spill
	s_branch .LBB2_49
.LBB2_47:                               ;   in Loop: Header=BB2_49 Depth=1
	s_or_b64 exec, exec, s[20:21]
.LBB2_48:                               ;   in Loop: Header=BB2_49 Depth=1
	s_or_b64 exec, exec, s[56:57]
	v_add_co_u32_e32 v28, vcc, v28, v12
	v_addc_co_u32_e32 v29, vcc, 0, v29, vcc
	v_cmp_ge_u64_e32 vcc, v[28:29], v[4:5]
	s_or_b64 s[42:43], vcc, s[42:43]
	s_andn2_b64 exec, exec, s[42:43]
	s_cbranch_execz .LBB2_222
.LBB2_49:                               ; =>This Loop Header: Depth=1
                                        ;     Child Loop BB2_58 Depth 2
                                        ;     Child Loop BB2_86 Depth 2
	;; [unrolled: 1-line block ×10, first 2 shown]
	v_sub_co_u32_e32 v2, vcc, v4, v28
	v_subb_co_u32_e32 v3, vcc, v5, v29, vcc
	v_cmp_lt_u64_e32 vcc, v[12:13], v[2:3]
	v_cndmask_b32_e64 v33, v3, 0, vcc
	v_cndmask_b32_e32 v32, v2, v12, vcc
	v_cmp_eq_u64_e32 vcc, 0, v[32:33]
	v_add_u32_e32 v2, 15, v32
	v_and_b32_e32 v2, 0x3ffffff0, v2
	s_or_b64 s[46:47], s[6:7], vcc
	v_max_i32_e32 v57, s31, v2
	s_xor_b64 s[20:21], s[46:47], -1
	v_mov_b32_e32 v2, 0
	s_and_saveexec_b64 s[56:57], s[20:21]
	s_cbranch_execz .LBB2_170
; %bb.50:                               ;   in Loop: Header=BB2_49 Depth=1
	s_and_saveexec_b64 s[20:21], s[4:5]
	s_cbranch_execz .LBB2_52
; %bb.51:                               ;   in Loop: Header=BB2_49 Depth=1
	s_trap 2
	ds_read_b64 v[2:3], v0
	v_lshlrev_b64 v[14:15], 1, v[54:55]
	v_mov_b32_e32 v47, v46
	ds_write_b64 v0, v[46:47]
	s_waitcnt lgkmcnt(0)
	v_add_co_u32_e32 v14, vcc, v2, v14
	v_addc_co_u32_e32 v15, vcc, v3, v15, vcc
	v_lshlrev_b64 v[2:3], 1, v[28:29]
	v_add_co_u32_e32 v2, vcc, v14, v2
	v_addc_co_u32_e32 v3, vcc, v15, v3, vcc
	ds_write_b64 v0, v[2:3]
.LBB2_52:                               ;   in Loop: Header=BB2_49 Depth=1
	s_or_b64 exec, exec, s[20:21]
	v_and_b32_e32 v2, 12, v53
	v_min_u32_e32 v57, v57, v32
	v_cmp_ne_u32_e32 vcc, 0, v2
	s_and_saveexec_b64 s[58:59], vcc
	s_cbranch_execz .LBB2_78
; %bb.53:                               ;   in Loop: Header=BB2_49 Depth=1
	v_and_b32_e32 v27, 8, v53
	s_waitcnt vmcnt(0)
	v_add_co_u32_e32 v2, vcc, v22, v27
	v_addc_co_u32_e32 v3, vcc, 0, v23, vcc
	v_add_co_u32_e32 v33, vcc, 1, v8
	v_addc_co_u32_e32 v34, vcc, 0, v9, vcc
	v_cmp_lt_u64_e32 vcc, v[2:3], v[33:34]
	s_and_saveexec_b64 s[60:61], vcc
	s_cbranch_execz .LBB2_65
; %bb.54:                               ;   in Loop: Header=BB2_49 Depth=1
	v_and_b32_e32 v2, 64, v53
	s_mov_b32 s35, 0
	v_cmp_eq_u32_e32 vcc, 0, v2
	s_mov_b64 s[62:63], 0
                                        ; implicit-def: $sgpr72_sgpr73
                                        ; implicit-def: $sgpr74_sgpr75
                                        ; implicit-def: $sgpr76_sgpr77
	s_branch .LBB2_58
.LBB2_55:                               ;   in Loop: Header=BB2_58 Depth=2
	s_waitcnt vmcnt(0) lgkmcnt(0)
	v_add_co_u32_e64 v14, s[20:21], v22, v27
	v_addc_co_u32_e64 v15, s[20:21], 0, v23, s[20:21]
	v_cmp_ge_u64_e64 s[20:21], v[14:15], v[33:34]
	s_or_b64 s[90:91], s[90:91], exec
	s_orn2_b64 s[88:89], s[20:21], exec
.LBB2_56:                               ;   in Loop: Header=BB2_58 Depth=2
	s_or_b64 exec, exec, s[94:95]
	s_andn2_b64 s[20:21], s[76:77], exec
	s_and_b64 s[76:77], s[90:91], exec
	s_or_b64 s[76:77], s[20:21], s[76:77]
	s_andn2_b64 s[20:21], s[74:75], exec
	s_and_b64 s[74:75], s[88:89], exec
	s_or_b64 s[74:75], s[20:21], s[74:75]
.LBB2_57:                               ;   in Loop: Header=BB2_58 Depth=2
	s_or_b64 exec, exec, s[78:79]
	s_and_b64 s[20:21], exec, s[74:75]
	s_or_b64 s[62:63], s[20:21], s[62:63]
	s_andn2_b64 s[20:21], s[72:73], exec
	s_and_b64 s[72:73], s[76:77], exec
	s_or_b64 s[72:73], s[20:21], s[72:73]
	s_andn2_b64 exec, exec, s[62:63]
	s_cbranch_execz .LBB2_62
.LBB2_58:                               ;   Parent Loop BB2_49 Depth=1
                                        ; =>  This Inner Loop Header: Depth=2
	s_sleep 1
	s_waitcnt vmcnt(0) lgkmcnt(0)
	flat_load_dwordx2 v[22:23], v[18:19] glc
	s_or_b64 s[76:77], s[76:77], exec
	s_or_b64 s[74:75], s[74:75], exec
                                        ; implicit-def: $vgpr2
	s_and_saveexec_b64 s[78:79], vcc
	s_cbranch_execz .LBB2_57
; %bb.59:                               ;   in Loop: Header=BB2_58 Depth=2
	s_cmpk_lt_i32 s35, 0x270f
	s_cselect_b64 s[92:93], -1, 0
	s_cmpk_gt_i32 s35, 0x270e
	s_mov_b64 s[88:89], -1
	s_cbranch_scc0 .LBB2_61
; %bb.60:                               ;   in Loop: Header=BB2_58 Depth=2
	s_trap 2
	ds_read_b64 v[2:3], v0
	s_andn2_b64 s[92:93], s[92:93], exec
	s_mov_b32 s35, 0
	s_mov_b64 s[90:91], 0
	s_waitcnt vmcnt(0) lgkmcnt(0)
	flat_load_dword v2, v[2:3] glc
	s_waitcnt vmcnt(0) lgkmcnt(0)
	buffer_wbinvl1_vol
	v_cmp_eq_u32_e64 s[20:21], 0, v2
	s_and_b64 s[20:21], s[20:21], exec
	s_or_b64 s[92:93], s[92:93], s[20:21]
	s_and_saveexec_b64 s[94:95], s[92:93]
	s_cbranch_execz .LBB2_56
	s_branch .LBB2_55
.LBB2_61:                               ;   in Loop: Header=BB2_58 Depth=2
	s_add_i32 s35, s35, 1
	s_mov_b64 s[90:91], -1
                                        ; implicit-def: $vgpr2
	s_and_saveexec_b64 s[94:95], s[92:93]
	s_cbranch_execz .LBB2_56
	s_branch .LBB2_55
.LBB2_62:                               ;   in Loop: Header=BB2_49 Depth=1
	s_or_b64 exec, exec, s[62:63]
	s_xor_b64 s[20:21], s[72:73], -1
	s_and_saveexec_b64 s[62:63], s[20:21]
	s_xor_b64 s[20:21], exec, s[62:63]
	s_cbranch_execz .LBB2_64
; %bb.63:                               ;   in Loop: Header=BB2_49 Depth=1
	v_or_b32_e32 v53, 64, v53
	s_waitcnt lgkmcnt(0)
	ds_write_b32 v0, v2
	s_trap 2
.LBB2_64:                               ;   in Loop: Header=BB2_49 Depth=1
	s_or_b64 exec, exec, s[20:21]
.LBB2_65:                               ;   in Loop: Header=BB2_49 Depth=1
	s_or_b64 exec, exec, s[60:61]
	v_and_b32_e32 v2, 0x108, v53
	v_cmp_ne_u32_e32 vcc, s34, v2
	v_and_b32_e32 v2, 7, v8
	;;#ASMSTART
	s_wakeup
	;;#ASMEND
	s_and_saveexec_b64 s[20:21], vcc
	s_xor_b64 s[20:21], exec, s[20:21]
                                        ; implicit-def: $vgpr3
; %bb.66:                               ;   in Loop: Header=BB2_49 Depth=1
	v_mov_b32_e32 v3, v46
; %bb.67:                               ;   in Loop: Header=BB2_49 Depth=1
	s_andn2_saveexec_b64 s[20:21], s[20:21]
	s_cbranch_execz .LBB2_69
; %bb.68:                               ;   in Loop: Header=BB2_49 Depth=1
	v_mad_u64_u32 v[8:9], s[60:61], v2, 24, v[6:7]
	v_mov_b32_e32 v3, v46
	v_lshlrev_b32_e32 v14, 1, v57
	v_mov_b32_e32 v15, v46
	flat_store_dwordx2 v[8:9], v[14:15] offset:8
.LBB2_69:                               ;   in Loop: Header=BB2_49 Depth=1
	s_or_b64 exec, exec, s[20:21]
	v_and_b32_e32 v8, 0x100, v53
	v_cmp_ne_u32_e32 vcc, 0, v8
	s_mov_b64 s[20:21], -1
                                        ; implicit-def: $vgpr8_vgpr9
	s_and_saveexec_b64 s[60:61], vcc
	s_cbranch_execz .LBB2_73
; %bb.70:                               ;   in Loop: Header=BB2_49 Depth=1
	v_mad_u64_u32 v[35:36], s[20:21], v2, 24, v[6:7]
	v_mov_b32_e32 v8, v36
	v_mad_u64_u32 v[8:9], s[20:21], v3, 24, v[8:9]
	v_mov_b32_e32 v36, v8
	flat_load_dword v8, v[35:36]
	s_waitcnt vmcnt(0) lgkmcnt(0)
	v_cmp_ne_u32_e32 vcc, 1, v8
	v_cmp_eq_u32_e64 s[20:21], 1, v8
                                        ; implicit-def: $vgpr8_vgpr9
	s_and_saveexec_b64 s[62:63], s[20:21]
	s_cbranch_execz .LBB2_72
; %bb.71:                               ;   in Loop: Header=BB2_49 Depth=1
	flat_load_dword v8, v[35:36] offset:4 glc
	s_waitcnt vmcnt(0) lgkmcnt(0)
	v_ashrrev_i32_e32 v9, 31, v8
	v_lshrrev_b64 v[8:9], 1, v[8:9]
.LBB2_72:                               ;   in Loop: Header=BB2_49 Depth=1
	s_or_b64 exec, exec, s[62:63]
	s_orn2_b64 s[20:21], vcc, exec
.LBB2_73:                               ;   in Loop: Header=BB2_49 Depth=1
	s_or_b64 exec, exec, s[60:61]
	s_and_saveexec_b64 s[60:61], s[20:21]
	s_cbranch_execz .LBB2_75
; %bb.74:                               ;   in Loop: Header=BB2_49 Depth=1
	v_mul_lo_u32 v3, v3, v61
	v_mul_lo_u32 v14, v2, v56
	v_mad_u64_u32 v[8:9], s[20:21], v2, v61, 0
	v_add3_u32 v9, v9, v14, v3
.LBB2_75:                               ;   in Loop: Header=BB2_49 Depth=1
	s_or_b64 exec, exec, s[60:61]
	v_lshlrev_b64 v[2:3], 1, v[8:9]
	v_cmp_eq_u32_e32 vcc, 0, v27
	v_cndmask_b32_e32 v14, v52, v40, vcc
	v_add_co_u32_e32 v2, vcc, v20, v2
	v_addc_co_u32_e32 v3, vcc, v21, v3, vcc
	v_add_u32_e32 v8, v0, v14
	ds_write_b64 v8, v[2:3] offset:584
	v_and_b32_e32 v2, 0x2000, v53
	v_cmp_ne_u32_e32 vcc, 0, v2
	s_and_saveexec_b64 s[20:21], vcc
	s_cbranch_execz .LBB2_77
; %bb.76:                               ;   in Loop: Header=BB2_49 Depth=1
	ds_read_b64 v[2:3], v0 offset:872
	s_waitcnt lgkmcnt(0)
	v_add_co_u32_e32 v2, vcc, 1, v2
	v_addc_co_u32_e32 v3, vcc, 0, v3, vcc
	ds_write_b64 v0, v[2:3] offset:872
.LBB2_77:                               ;   in Loop: Header=BB2_49 Depth=1
	s_or_b64 exec, exec, s[20:21]
	v_mov_b32_e32 v8, v33
	v_mov_b32_e32 v9, v34
.LBB2_78:                               ;   in Loop: Header=BB2_49 Depth=1
	s_or_b64 exec, exec, s[58:59]
	s_and_saveexec_b64 s[20:21], s[10:11]
	s_cbranch_execz .LBB2_97
; %bb.79:                               ;   in Loop: Header=BB2_49 Depth=1
	s_and_saveexec_b64 s[58:59], s[40:41]
	s_xor_b64 s[58:59], exec, s[58:59]
	s_cbranch_execz .LBB2_94
; %bb.80:                               ;   in Loop: Header=BB2_49 Depth=1
	s_and_saveexec_b64 s[60:61], s[12:13]
	s_cbranch_execz .LBB2_93
; %bb.81:                               ;   in Loop: Header=BB2_49 Depth=1
	s_mov_b64 s[72:73], exec
	v_mbcnt_lo_u32_b32 v2, s72, 0
	v_mbcnt_hi_u32_b32 v2, s73, v2
	v_cmp_eq_u32_e32 vcc, 0, v2
	s_waitcnt vmcnt(0) lgkmcnt(0)
	buffer_wbinvl1_vol
	s_and_saveexec_b64 s[62:63], vcc
	s_cbranch_execz .LBB2_83
; %bb.82:                               ;   in Loop: Header=BB2_49 Depth=1
	s_bcnt1_i32_b64 s72, s[72:73]
	v_mov_b32_e32 v2, s72
	v_mov_b32_e32 v3, v46
	ds_add_u64 v0, v[2:3]
	s_trap 2
.LBB2_83:                               ;   in Loop: Header=BB2_49 Depth=1
	s_or_b64 exec, exec, s[62:63]
	s_trap 2
	ds_read_b64 v[2:3], v0
	s_waitcnt lgkmcnt(0)
	v_add_co_u32_e32 v10, vcc, v10, v39
	v_addc_co_u32_e32 v11, vcc, 0, v11, vcc
	v_cmp_lt_u64_e32 vcc, v[2:3], v[10:11]
	s_and_saveexec_b64 s[62:63], vcc
	s_cbranch_execz .LBB2_92
; %bb.84:                               ;   in Loop: Header=BB2_49 Depth=1
	s_mov_b32 s92, 0
	s_mov_b64 s[72:73], 0
                                        ; implicit-def: $sgpr74_sgpr75
                                        ; implicit-def: $sgpr76_sgpr77
	s_branch .LBB2_86
.LBB2_85:                               ;   in Loop: Header=BB2_86 Depth=2
	s_or_b64 exec, exec, s[88:89]
	s_and_b64 s[78:79], exec, s[90:91]
	s_or_b64 s[72:73], s[78:79], s[72:73]
	s_andn2_b64 s[74:75], s[74:75], exec
	s_and_b64 s[78:79], s[76:77], exec
	s_or_b64 s[74:75], s[74:75], s[78:79]
	s_andn2_b64 exec, exec, s[72:73]
	s_cbranch_execz .LBB2_90
.LBB2_86:                               ;   Parent Loop BB2_49 Depth=1
                                        ; =>  This Inner Loop Header: Depth=2
	s_add_i32 s92, s92, 1
	s_cmpk_lg_i32 s92, 0x2710
	s_cselect_b64 s[78:79], -1, 0
	s_and_b64 vcc, exec, s[78:79]
	s_cbranch_vccz .LBB2_88
; %bb.87:                               ;   in Loop: Header=BB2_86 Depth=2
	s_mov_b64 s[90:91], -1
	s_or_b64 s[76:77], s[76:77], exec
	s_and_saveexec_b64 s[88:89], s[78:79]
	s_cbranch_execz .LBB2_85
	s_branch .LBB2_89
.LBB2_88:                               ;   in Loop: Header=BB2_86 Depth=2
	s_trap 2
	ds_read_b64 v[2:3], v0
	s_andn2_b64 s[78:79], s[78:79], exec
	s_mov_b32 s92, 0
	s_waitcnt lgkmcnt(0)
	flat_load_dword v2, v[2:3] glc
	s_waitcnt vmcnt(0) lgkmcnt(0)
	buffer_wbinvl1_vol
	v_cmp_eq_u32_e32 vcc, 0, v2
	s_and_b64 s[88:89], vcc, exec
	s_or_b64 s[78:79], s[78:79], s[88:89]
	s_mov_b64 s[90:91], -1
	s_or_b64 s[76:77], s[76:77], exec
	s_and_saveexec_b64 s[88:89], s[78:79]
	s_cbranch_execz .LBB2_85
.LBB2_89:                               ;   in Loop: Header=BB2_86 Depth=2
	s_sleep 1
	s_trap 2
	ds_read_b64 v[2:3], v0
	s_waitcnt lgkmcnt(0)
	s_andn2_b64 s[76:77], s[76:77], exec
	v_cmp_ge_u64_e32 vcc, v[2:3], v[10:11]
	s_orn2_b64 s[90:91], vcc, exec
	s_branch .LBB2_85
.LBB2_90:                               ;   in Loop: Header=BB2_49 Depth=1
	s_or_b64 exec, exec, s[72:73]
	s_and_saveexec_b64 s[72:73], s[74:75]
	s_xor_b64 s[72:73], exec, s[72:73]
	s_cbranch_execz .LBB2_92
; %bb.91:                               ;   in Loop: Header=BB2_49 Depth=1
	ds_write_b32 v0, v41
	s_trap 2
.LBB2_92:                               ;   in Loop: Header=BB2_49 Depth=1
	s_or_b64 exec, exec, s[62:63]
	;;#ASMSTART
	s_wakeup
	;;#ASMEND
.LBB2_93:                               ;   in Loop: Header=BB2_49 Depth=1
	s_or_b64 exec, exec, s[60:61]
.LBB2_94:                               ;   in Loop: Header=BB2_49 Depth=1
	s_andn2_saveexec_b64 s[58:59], s[58:59]
	s_cbranch_execz .LBB2_96
; %bb.95:                               ;   in Loop: Header=BB2_49 Depth=1
	s_waitcnt vmcnt(0) lgkmcnt(0)
	buffer_wbinvl1_vol
	s_barrier
.LBB2_96:                               ;   in Loop: Header=BB2_49 Depth=1
	s_or_b64 exec, exec, s[58:59]
.LBB2_97:                               ;   in Loop: Header=BB2_49 Depth=1
	s_or_b64 exec, exec, s[20:21]
	s_trap 2
	ds_read_b32 v27, v0
	v_and_b32_e32 v2, 0x4000, v53
	v_cmp_ne_u32_e32 vcc, 0, v2
	s_and_b64 s[58:59], s[44:45], vcc
	s_and_saveexec_b64 s[20:21], s[58:59]
	s_cbranch_execz .LBB2_116
; %bb.98:                               ;   in Loop: Header=BB2_49 Depth=1
	s_and_saveexec_b64 s[58:59], s[40:41]
	s_xor_b64 s[58:59], exec, s[58:59]
	s_cbranch_execz .LBB2_113
; %bb.99:                               ;   in Loop: Header=BB2_49 Depth=1
	s_and_saveexec_b64 s[60:61], s[12:13]
	s_cbranch_execz .LBB2_112
; %bb.100:                              ;   in Loop: Header=BB2_49 Depth=1
	s_mov_b64 s[72:73], exec
	v_mbcnt_lo_u32_b32 v2, s72, 0
	v_mbcnt_hi_u32_b32 v2, s73, v2
	v_cmp_eq_u32_e32 vcc, 0, v2
	s_waitcnt vmcnt(0) lgkmcnt(0)
	buffer_wbinvl1_vol
	s_and_saveexec_b64 s[62:63], vcc
	s_cbranch_execz .LBB2_102
; %bb.101:                              ;   in Loop: Header=BB2_49 Depth=1
	s_bcnt1_i32_b64 s72, s[72:73]
	v_mov_b32_e32 v2, s72
	v_mov_b32_e32 v3, v46
	ds_add_u64 v0, v[2:3]
	s_trap 2
.LBB2_102:                              ;   in Loop: Header=BB2_49 Depth=1
	s_or_b64 exec, exec, s[62:63]
	s_trap 2
	ds_read_b64 v[2:3], v0
	s_waitcnt lgkmcnt(0)
	v_add_co_u32_e32 v10, vcc, v10, v39
	v_addc_co_u32_e32 v11, vcc, 0, v11, vcc
	v_cmp_lt_u64_e32 vcc, v[2:3], v[10:11]
	s_and_saveexec_b64 s[62:63], vcc
	s_cbranch_execz .LBB2_111
; %bb.103:                              ;   in Loop: Header=BB2_49 Depth=1
	s_mov_b32 s92, 0
	s_mov_b64 s[72:73], 0
                                        ; implicit-def: $sgpr74_sgpr75
                                        ; implicit-def: $sgpr76_sgpr77
	s_branch .LBB2_105
.LBB2_104:                              ;   in Loop: Header=BB2_105 Depth=2
	s_or_b64 exec, exec, s[88:89]
	s_and_b64 s[78:79], exec, s[90:91]
	s_or_b64 s[72:73], s[78:79], s[72:73]
	s_andn2_b64 s[74:75], s[74:75], exec
	s_and_b64 s[78:79], s[76:77], exec
	s_or_b64 s[74:75], s[74:75], s[78:79]
	s_andn2_b64 exec, exec, s[72:73]
	s_cbranch_execz .LBB2_109
.LBB2_105:                              ;   Parent Loop BB2_49 Depth=1
                                        ; =>  This Inner Loop Header: Depth=2
	s_add_i32 s92, s92, 1
	s_cmpk_lg_i32 s92, 0x2710
	s_cselect_b64 s[78:79], -1, 0
	s_and_b64 vcc, exec, s[78:79]
	s_cbranch_vccz .LBB2_107
; %bb.106:                              ;   in Loop: Header=BB2_105 Depth=2
	s_mov_b64 s[90:91], -1
	s_or_b64 s[76:77], s[76:77], exec
	s_and_saveexec_b64 s[88:89], s[78:79]
	s_cbranch_execz .LBB2_104
	s_branch .LBB2_108
.LBB2_107:                              ;   in Loop: Header=BB2_105 Depth=2
	s_trap 2
	ds_read_b64 v[2:3], v0
	s_andn2_b64 s[78:79], s[78:79], exec
	s_mov_b32 s92, 0
	s_waitcnt lgkmcnt(0)
	flat_load_dword v2, v[2:3] glc
	s_waitcnt vmcnt(0) lgkmcnt(0)
	buffer_wbinvl1_vol
	v_cmp_eq_u32_e32 vcc, 0, v2
	s_and_b64 s[88:89], vcc, exec
	s_or_b64 s[78:79], s[78:79], s[88:89]
	s_mov_b64 s[90:91], -1
	s_or_b64 s[76:77], s[76:77], exec
	s_and_saveexec_b64 s[88:89], s[78:79]
	s_cbranch_execz .LBB2_104
.LBB2_108:                              ;   in Loop: Header=BB2_105 Depth=2
	s_sleep 1
	s_trap 2
	ds_read_b64 v[2:3], v0
	s_waitcnt lgkmcnt(0)
	s_andn2_b64 s[76:77], s[76:77], exec
	v_cmp_ge_u64_e32 vcc, v[2:3], v[10:11]
	s_orn2_b64 s[90:91], vcc, exec
	s_branch .LBB2_104
.LBB2_109:                              ;   in Loop: Header=BB2_49 Depth=1
	s_or_b64 exec, exec, s[72:73]
	s_and_saveexec_b64 s[72:73], s[74:75]
	s_xor_b64 s[72:73], exec, s[72:73]
	s_cbranch_execz .LBB2_111
; %bb.110:                              ;   in Loop: Header=BB2_49 Depth=1
	ds_write_b32 v0, v41
	s_trap 2
.LBB2_111:                              ;   in Loop: Header=BB2_49 Depth=1
	s_or_b64 exec, exec, s[62:63]
	;;#ASMSTART
	s_wakeup
	;;#ASMEND
.LBB2_112:                              ;   in Loop: Header=BB2_49 Depth=1
	s_or_b64 exec, exec, s[60:61]
.LBB2_113:                              ;   in Loop: Header=BB2_49 Depth=1
	s_andn2_saveexec_b64 s[58:59], s[58:59]
	s_cbranch_execz .LBB2_115
; %bb.114:                              ;   in Loop: Header=BB2_49 Depth=1
	s_waitcnt vmcnt(0) lgkmcnt(0)
	buffer_wbinvl1_vol
	s_barrier
.LBB2_115:                              ;   in Loop: Header=BB2_49 Depth=1
	s_or_b64 exec, exec, s[58:59]
.LBB2_116:                              ;   in Loop: Header=BB2_49 Depth=1
	s_or_b64 exec, exec, s[20:21]
	s_trap 2
	ds_read_b64 v[33:34], v0
	s_waitcnt lgkmcnt(0)
	v_cmp_eq_u64_e32 vcc, 0, v[33:34]
	s_cbranch_vccnz .LBB2_124
; %bb.117:                              ;   in Loop: Header=BB2_49 Depth=1
	s_trap 2
	ds_read_b64 v[35:36], v0
	s_waitcnt lgkmcnt(0)
	v_cmp_eq_u64_e32 vcc, 0, v[35:36]
	s_cbranch_vccnz .LBB2_124
; %bb.118:                              ;   in Loop: Header=BB2_49 Depth=1
	s_mov_b64 s[20:21], -1
	s_and_saveexec_b64 s[58:59], s[14:15]
	s_cbranch_execz .LBB2_120
; %bb.119:                              ;   in Loop: Header=BB2_49 Depth=1
	ds_read_b32 v2, v0 offset:720
	s_waitcnt lgkmcnt(0)
	v_and_b32_e32 v2, 15, v2
	v_cmp_eq_u32_e32 vcc, 0, v2
	s_orn2_b64 s[20:21], vcc, exec
.LBB2_120:                              ;   in Loop: Header=BB2_49 Depth=1
	s_or_b64 exec, exec, s[58:59]
	s_and_saveexec_b64 s[58:59], s[16:17]
	s_cbranch_execz .LBB2_122
; %bb.121:                              ;   in Loop: Header=BB2_49 Depth=1
	ds_read_b32 v2, v0 offset:784
	s_waitcnt lgkmcnt(0)
	v_and_b32_e32 v2, 15, v2
	v_cmp_eq_u32_e32 vcc, 0, v2
	s_and_b64 s[60:61], s[20:21], vcc
	s_andn2_b64 s[20:21], s[20:21], exec
	s_and_b64 s[60:61], s[60:61], exec
	s_or_b64 s[20:21], s[20:21], s[60:61]
.LBB2_122:                              ;   in Loop: Header=BB2_49 Depth=1
	s_or_b64 exec, exec, s[58:59]
	v_cmp_eq_u32_e32 vcc, 0, v27
	s_xor_b64 s[20:21], s[20:21], -1
	v_cndmask_b32_e32 v47, 0, v57, vcc
	v_cndmask_b32_e64 v2, 0, 1, s[20:21]
	v_lshlrev_b32_e32 v58, 1, v47
	s_mov_b64 s[60:61], -1
	v_cmp_ne_u32_e32 vcc, 0, v2
	v_mov_b32_e32 v59, 0
	s_cbranch_vccz .LBB2_125
; %bb.123:                              ;   in Loop: Header=BB2_49 Depth=1
	v_mov_b32_e32 v60, v0
	s_and_saveexec_b64 s[20:21], s[60:61]
	s_cbranch_execnz .LBB2_136
	s_branch .LBB2_144
.LBB2_124:                              ;   in Loop: Header=BB2_49 Depth=1
	s_mov_b64 s[20:21], 0
	s_and_saveexec_b64 s[58:59], s[10:11]
	s_cbranch_execnz .LBB2_145
	s_branch .LBB2_163
.LBB2_125:                              ;   in Loop: Header=BB2_49 Depth=1
	buffer_load_dword v15, off, s[0:3], s33 offset:84 ; 4-byte Folded Reload
	v_lshrrev_b32_e32 v14, 9, v47
	v_lshlrev_b32_e32 v2, 4, v0
	v_lshlrev_b32_e32 v40, 10, v14
	v_sub_u32_e32 v3, v58, v2
	v_sub_u32_e32 v2, v58, v40
	v_cmp_lt_i32_e32 vcc, 15, v2
	v_mov_b32_e32 v52, v61
	s_waitcnt vmcnt(0)
	v_addc_co_u32_e64 v42, s[20:21], v14, v15, vcc
	v_cmp_lt_i32_e64 s[20:21], 15, v3
	s_and_saveexec_b64 s[58:59], s[20:21]
	s_cbranch_execz .LBB2_129
; %bb.126:                              ;   in Loop: Header=BB2_49 Depth=1
	s_trap 2
	buffer_load_dword v17, off, s[0:3], s33 offset:92 ; 4-byte Folded Reload
	ds_read_b64 v[14:15], v0
	v_lshlrev_b32_e32 v16, 4, v0
	v_add_co_u32_e64 v37, s[20:21], v33, v16
	v_mov_b32_e32 v30, v62
	s_mov_b64 s[60:61], 0
	s_waitcnt vmcnt(0)
	v_addc_co_u32_e64 v38, s[20:21], v34, v17, s[20:21]
	s_waitcnt lgkmcnt(0)
	v_add_co_u32_e64 v48, s[20:21], v14, v16
	v_addc_co_u32_e64 v49, s[20:21], v15, v17, s[20:21]
	v_add_co_u32_e64 v50, s[20:21], v35, v16
	v_addc_co_u32_e64 v51, s[20:21], v36, v17, s[20:21]
.LBB2_127:                              ;   Parent Loop BB2_49 Depth=1
                                        ; =>  This Inner Loop Header: Depth=2
	global_load_dwordx4 v[14:17], v[37:38], off glc slc
	global_load_dwordx4 v[59:62], v[48:49], off glc slc
	v_add_co_u32_e64 v37, s[20:21], v37, v43
	v_addc_co_u32_e64 v38, s[20:21], 0, v38, s[20:21]
	v_add_co_u32_e64 v48, s[20:21], v48, v43
	v_addc_co_u32_e64 v49, s[20:21], 0, v49, s[20:21]
	v_sub_u32_e32 v3, v3, v43
	v_cmp_gt_i32_e64 s[20:21], 16, v3
	s_or_b64 s[60:61], s[20:21], s[60:61]
	v_sub_u32_e32 v42, v42, v39
	s_waitcnt vmcnt(0)
	v_add_f16_e32 v24, v14, v59
	v_add_f16_sdwa v14, v14, v59 dst_sel:WORD_1 dst_unused:UNUSED_PAD src0_sel:WORD_1 src1_sel:WORD_1
	v_add_f16_e32 v25, v15, v60
	v_add_f16_sdwa v15, v15, v60 dst_sel:WORD_1 dst_unused:UNUSED_PAD src0_sel:WORD_1 src1_sel:WORD_1
	v_add_f16_e32 v26, v16, v61
	v_add_f16_sdwa v16, v16, v61 dst_sel:WORD_1 dst_unused:UNUSED_PAD src0_sel:WORD_1 src1_sel:WORD_1
	v_add_f16_e32 v27, v17, v62
	v_add_f16_sdwa v17, v17, v62 dst_sel:WORD_1 dst_unused:UNUSED_PAD src0_sel:WORD_1 src1_sel:WORD_1
	v_or_b32_e32 v15, v15, v25
	v_or_b32_e32 v14, v14, v24
	;; [unrolled: 1-line block ×4, first 2 shown]
	global_store_dwordx4 v[50:51], v[14:17], off glc slc
	v_add_co_u32_e64 v50, s[20:21], v50, v43
	v_addc_co_u32_e64 v51, s[20:21], 0, v51, s[20:21]
	s_andn2_b64 exec, exec, s[60:61]
	s_cbranch_execnz .LBB2_127
; %bb.128:                              ;   in Loop: Header=BB2_49 Depth=1
	s_or_b64 exec, exec, s[60:61]
	buffer_load_dword v24, off, s[0:3], s33 offset:68 ; 4-byte Folded Reload
	buffer_load_dword v25, off, s[0:3], s33 offset:72 ; 4-byte Folded Reload
	v_mov_b32_e32 v62, v30
.LBB2_129:                              ;   in Loop: Header=BB2_49 Depth=1
	s_or_b64 exec, exec, s[58:59]
	v_and_b32_e32 v3, 14, v58
	v_cndmask_b32_e32 v61, v2, v3, vcc
	v_mov_b32_e32 v59, 0
	v_cmp_ne_u32_e64 s[20:21], 0, v61
	s_mov_b64 s[60:61], 0
                                        ; implicit-def: $vgpr58
                                        ; implicit-def: $vgpr60
	s_and_saveexec_b64 s[58:59], s[20:21]
	s_cbranch_execz .LBB2_135
; %bb.130:                              ;   in Loop: Header=BB2_49 Depth=1
	v_sub_u32_e32 v2, v2, v3
	buffer_load_dword v3, off, s[0:3], s33 offset:88 ; 4-byte Folded Reload
	v_cndmask_b32_e32 v2, 0, v2, vcc
	v_cmp_lt_i32_e32 vcc, 0, v42
	v_add_u32_e32 v58, v2, v40
	v_cndmask_b32_e32 v2, 0, v39, vcc
	v_sub_u32_e32 v2, v2, v42
	s_waitcnt vmcnt(0)
	v_lshl_add_u32 v2, v2, 6, v3
	v_ashrrev_i32_e32 v3, 31, v2
	v_lshrrev_b32_e32 v3, 26, v3
	v_add_u32_e32 v3, v2, v3
	v_ashrrev_i32_e32 v14, 6, v3
	v_and_b32_e32 v3, 0xffffffc0, v3
	v_sub_u32_e32 v60, v2, v3
	v_lshlrev_b32_e32 v2, 4, v60
	v_lshl_add_u32 v37, v14, 10, v2
	v_ashrrev_i32_e32 v2, 31, v61
	v_lshrrev_b32_e32 v2, 22, v2
	v_add_u32_e32 v2, v61, v2
	v_ashrrev_i32_e32 v15, 10, v2
	v_and_b32_e32 v2, 0xfffffc00, v2
	v_sub_u32_e32 v3, v61, v2
	v_cmp_lt_i32_e32 vcc, 15, v3
	v_sub_u32_e32 v59, v61, v37
	v_addc_co_u32_e64 v15, s[20:21], 0, v15, vcc
	v_sub_u32_e32 v42, v15, v14
	v_cmp_lt_i32_e64 s[20:21], 15, v59
	s_and_saveexec_b64 s[60:61], s[20:21]
	s_cbranch_execz .LBB2_134
; %bb.131:                              ;   in Loop: Header=BB2_49 Depth=1
	s_trap 2
	ds_read_b64 v[14:15], v0
	v_add_u32_e32 v16, v37, v58
	v_ashrrev_i32_e32 v17, 31, v16
	v_add_co_u32_e64 v37, s[20:21], v16, v33
	v_addc_co_u32_e64 v38, s[20:21], v17, v34, s[20:21]
	s_waitcnt lgkmcnt(0)
	v_add_co_u32_e64 v48, s[20:21], v14, v16
	v_addc_co_u32_e64 v49, s[20:21], v15, v17, s[20:21]
	v_add_co_u32_e64 v50, s[20:21], v16, v35
	v_addc_co_u32_e64 v51, s[20:21], v17, v36, s[20:21]
	s_mov_b64 s[62:63], 0
.LBB2_132:                              ;   Parent Loop BB2_49 Depth=1
                                        ; =>  This Inner Loop Header: Depth=2
	global_load_dwordx4 v[14:17], v[37:38], off glc slc
	global_load_dwordx4 v[24:27], v[48:49], off glc slc
	v_add_co_u32_e64 v37, s[20:21], v37, v43
	v_addc_co_u32_e64 v38, s[20:21], 0, v38, s[20:21]
	v_add_co_u32_e64 v48, s[20:21], v48, v43
	v_addc_co_u32_e64 v49, s[20:21], 0, v49, s[20:21]
	v_sub_u32_e32 v59, v59, v43
	v_cmp_gt_i32_e64 s[20:21], 16, v59
	s_or_b64 s[62:63], s[20:21], s[62:63]
	v_sub_u32_e32 v42, v42, v39
	s_waitcnt vmcnt(0)
	v_add_f16_e32 v40, v14, v24
	v_add_f16_sdwa v14, v14, v24 dst_sel:WORD_1 dst_unused:UNUSED_PAD src0_sel:WORD_1 src1_sel:WORD_1
	v_add_f16_e32 v24, v15, v25
	v_add_f16_sdwa v15, v15, v25 dst_sel:WORD_1 dst_unused:UNUSED_PAD src0_sel:WORD_1 src1_sel:WORD_1
	;; [unrolled: 2-line block ×4, first 2 shown]
	v_or_b32_e32 v15, v15, v24
	v_or_b32_e32 v14, v14, v40
	;; [unrolled: 1-line block ×4, first 2 shown]
	global_store_dwordx4 v[50:51], v[14:17], off glc slc
	v_add_co_u32_e64 v50, s[20:21], v50, v43
	v_addc_co_u32_e64 v51, s[20:21], 0, v51, s[20:21]
	s_andn2_b64 exec, exec, s[62:63]
	s_cbranch_execnz .LBB2_132
; %bb.133:                              ;   in Loop: Header=BB2_49 Depth=1
	s_or_b64 exec, exec, s[62:63]
	buffer_load_dword v24, off, s[0:3], s33 offset:68 ; 4-byte Folded Reload
	buffer_load_dword v25, off, s[0:3], s33 offset:72 ; 4-byte Folded Reload
.LBB2_134:                              ;   in Loop: Header=BB2_49 Depth=1
	s_or_b64 exec, exec, s[60:61]
	v_and_b32_e32 v14, 14, v61
	v_sub_u32_e32 v15, v3, v14
	v_cndmask_b32_e32 v15, 0, v15, vcc
	v_add3_u32 v59, v2, v58, v15
	v_cndmask_b32_e32 v58, v3, v14, vcc
	v_cmp_lt_i32_e32 vcc, 0, v42
	v_cndmask_b32_e32 v2, 0, v39, vcc
	v_sub_u32_e32 v2, v2, v42
	v_cmp_ne_u32_e32 vcc, 0, v58
	v_lshl_add_u32 v60, v2, 6, v60
	s_and_b64 s[60:61], vcc, exec
.LBB2_135:                              ;   in Loop: Header=BB2_49 Depth=1
	s_or_b64 exec, exec, s[58:59]
	v_mov_b32_e32 v61, v52
	v_mov_b32_e32 v52, 0xc8
	;; [unrolled: 1-line block ×3, first 2 shown]
	s_and_saveexec_b64 s[20:21], s[60:61]
	s_cbranch_execz .LBB2_144
.LBB2_136:                              ;   in Loop: Header=BB2_49 Depth=1
	v_ashrrev_i32_e32 v2, 31, v60
	v_ashrrev_i32_e32 v3, 31, v58
	v_lshrrev_b32_e32 v2, 26, v2
	v_lshrrev_b32_e32 v3, 23, v3
	v_add_u32_e32 v37, v60, v2
	v_add_u32_e32 v3, v58, v3
	v_ashrrev_i32_e32 v2, 6, v37
	v_ashrrev_i32_e32 v42, 9, v3
	v_sub_u32_e32 v3, v42, v2
	v_cmp_lt_i32_e32 vcc, 0, v3
	s_and_saveexec_b64 s[58:59], vcc
	s_cbranch_execz .LBB2_140
; %bb.137:                              ;   in Loop: Header=BB2_49 Depth=1
	v_and_b32_e32 v14, 0x7fffffc0, v37
	v_sub_u32_e32 v14, v60, v14
	v_lshlrev_b32_e32 v14, 1, v14
	v_lshlrev_b32_e32 v15, 9, v2
	v_add3_u32 v16, v14, v59, v15
	s_trap 2
	ds_read_b64 v[14:15], v0
	v_ashrrev_i32_e32 v17, 31, v16
	v_add_co_u32_e32 v37, vcc, v16, v33
	v_addc_co_u32_e32 v38, vcc, v17, v34, vcc
	s_waitcnt lgkmcnt(0)
	v_add_co_u32_e32 v48, vcc, v14, v16
	v_addc_co_u32_e32 v49, vcc, v15, v17, vcc
	v_add_co_u32_e32 v50, vcc, v16, v35
	v_addc_co_u32_e32 v51, vcc, v17, v36, vcc
	s_mov_b64 s[60:61], 0
.LBB2_138:                              ;   Parent Loop BB2_49 Depth=1
                                        ; =>  This Inner Loop Header: Depth=2
	flat_load_ushort v14, v[37:38] glc slc
	flat_load_ushort v15, v[37:38] offset:128 glc slc
	flat_load_ushort v16, v[37:38] offset:256 glc slc
	;; [unrolled: 1-line block ×3, first 2 shown]
	s_waitcnt vmcnt(0)
	flat_load_ushort v24, v[48:49] glc slc
	flat_load_ushort v25, v[48:49] offset:128 glc slc
	flat_load_ushort v26, v[48:49] offset:256 glc slc
	;; [unrolled: 1-line block ×3, first 2 shown]
	v_add_co_u32_e32 v37, vcc, v37, v44
	v_addc_co_u32_e32 v38, vcc, 0, v38, vcc
	v_add_co_u32_e32 v48, vcc, v48, v44
	v_addc_co_u32_e32 v49, vcc, 0, v49, vcc
	v_sub_u32_e32 v3, v3, v39
	v_cmp_gt_i32_e32 vcc, 1, v3
	s_or_b64 s[60:61], vcc, s[60:61]
	s_waitcnt vmcnt(0) lgkmcnt(0)
	v_add_f16_e32 v14, v14, v24
	v_add_f16_e32 v15, v15, v25
	;; [unrolled: 1-line block ×4, first 2 shown]
	flat_store_short v[50:51], v14 glc slc
	flat_store_short v[50:51], v15 offset:128 glc slc
	flat_store_short v[50:51], v16 offset:256 glc slc
	;; [unrolled: 1-line block ×3, first 2 shown]
	v_add_co_u32_e32 v50, vcc, v50, v44
	v_addc_co_u32_e32 v51, vcc, 0, v51, vcc
	s_andn2_b64 exec, exec, s[60:61]
	s_cbranch_execnz .LBB2_138
; %bb.139:                              ;   in Loop: Header=BB2_49 Depth=1
	s_or_b64 exec, exec, s[60:61]
	buffer_load_dword v24, off, s[0:3], s33 offset:68 ; 4-byte Folded Reload
	buffer_load_dword v25, off, s[0:3], s33 offset:72 ; 4-byte Folded Reload
.LBB2_140:                              ;   in Loop: Header=BB2_49 Depth=1
	s_or_b64 exec, exec, s[58:59]
	v_lshlrev_b32_e32 v37, 9, v42
	v_cmp_ne_u32_e32 vcc, v58, v37
	s_and_b64 exec, exec, vcc
	s_cbranch_execz .LBB2_144
; %bb.141:                              ;   in Loop: Header=BB2_49 Depth=1
	v_lshlrev_b32_e32 v2, 6, v2
	v_sub_u32_e32 v2, v60, v2
	v_lshlrev_b32_e32 v3, 6, v3
	v_sub_u32_e32 v2, v2, v3
	v_ashrrev_i32_e32 v3, 31, v2
	v_lshrrev_b32_e32 v3, 26, v3
	v_add_u32_e32 v3, v2, v3
	v_and_b32_e32 v14, 0x7fffffc0, v3
	v_sub_u32_e32 v2, v2, v14
	v_lshlrev_b32_e32 v3, 1, v3
	v_and_b32_e32 v3, 0xffffff80, v3
	v_lshlrev_b32_e32 v2, 1, v2
	v_add3_u32 v3, v3, v2, v37
	v_sub_u32_e32 v2, v58, v3
	v_cmp_lt_i32_e32 vcc, 1, v2
	s_and_b64 exec, exec, vcc
	s_cbranch_execz .LBB2_144
; %bb.142:                              ;   in Loop: Header=BB2_49 Depth=1
	s_trap 2
	ds_read_b64 v[14:15], v0
	v_add_u32_e32 v3, v3, v59
	v_ashrrev_i32_e32 v16, 31, v3
	v_add_co_u32_e32 v33, vcc, v3, v33
	v_addc_co_u32_e32 v34, vcc, v16, v34, vcc
	s_waitcnt lgkmcnt(0)
	v_add_co_u32_e32 v37, vcc, v14, v3
	v_addc_co_u32_e32 v38, vcc, v15, v16, vcc
	v_add_co_u32_e32 v35, vcc, v3, v35
	v_addc_co_u32_e32 v36, vcc, v16, v36, vcc
	s_mov_b64 s[58:59], 0
.LBB2_143:                              ;   Parent Loop BB2_49 Depth=1
                                        ; =>  This Inner Loop Header: Depth=2
	flat_load_ushort v3, v[33:34] glc slc
	flat_load_ushort v14, v[37:38] glc slc
	v_add_co_u32_e32 v33, vcc, v33, v45
	v_addc_co_u32_e32 v34, vcc, 0, v34, vcc
	v_add_co_u32_e32 v37, vcc, v37, v45
	v_addc_co_u32_e32 v38, vcc, 0, v38, vcc
	v_sub_u32_e32 v2, v2, v45
	v_cmp_gt_i32_e32 vcc, 2, v2
	s_or_b64 s[58:59], vcc, s[58:59]
	s_waitcnt vmcnt(0) lgkmcnt(0)
	v_add_f16_e32 v3, v3, v14
	flat_store_short v[35:36], v3 glc slc
	v_add_co_u32_e32 v35, vcc, v35, v45
	v_addc_co_u32_e32 v36, vcc, 0, v36, vcc
	s_andn2_b64 exec, exec, s[58:59]
	s_cbranch_execnz .LBB2_143
.LBB2_144:                              ;   in Loop: Header=BB2_49 Depth=1
	s_or_b64 exec, exec, s[20:21]
	v_cmp_ne_u32_e64 s[20:21], 0, v47
	s_and_saveexec_b64 s[58:59], s[10:11]
	s_cbranch_execz .LBB2_163
.LBB2_145:                              ;   in Loop: Header=BB2_49 Depth=1
	s_and_saveexec_b64 s[60:61], s[40:41]
	s_xor_b64 s[60:61], exec, s[60:61]
	s_cbranch_execz .LBB2_160
; %bb.146:                              ;   in Loop: Header=BB2_49 Depth=1
	s_and_saveexec_b64 s[62:63], s[12:13]
	s_cbranch_execz .LBB2_159
; %bb.147:                              ;   in Loop: Header=BB2_49 Depth=1
	s_mov_b64 s[74:75], exec
	v_mbcnt_lo_u32_b32 v2, s74, 0
	v_mbcnt_hi_u32_b32 v2, s75, v2
	v_cmp_eq_u32_e32 vcc, 0, v2
	s_waitcnt vmcnt(0) lgkmcnt(0)
	buffer_wbinvl1_vol
	s_and_saveexec_b64 s[72:73], vcc
	s_cbranch_execz .LBB2_149
; %bb.148:                              ;   in Loop: Header=BB2_49 Depth=1
	s_bcnt1_i32_b64 s74, s[74:75]
	v_mov_b32_e32 v2, s74
	v_mov_b32_e32 v3, v46
	ds_add_u64 v0, v[2:3]
	s_trap 2
.LBB2_149:                              ;   in Loop: Header=BB2_49 Depth=1
	s_or_b64 exec, exec, s[72:73]
	s_trap 2
	ds_read_b64 v[2:3], v0
	s_waitcnt lgkmcnt(0)
	v_add_co_u32_e32 v10, vcc, v10, v39
	v_addc_co_u32_e32 v11, vcc, 0, v11, vcc
	v_cmp_lt_u64_e32 vcc, v[2:3], v[10:11]
	s_and_saveexec_b64 s[72:73], vcc
	s_cbranch_execz .LBB2_158
; %bb.150:                              ;   in Loop: Header=BB2_49 Depth=1
	s_mov_b32 s94, 0
	s_mov_b64 s[74:75], 0
                                        ; implicit-def: $sgpr76_sgpr77
                                        ; implicit-def: $sgpr78_sgpr79
	s_branch .LBB2_152
.LBB2_151:                              ;   in Loop: Header=BB2_152 Depth=2
	s_or_b64 exec, exec, s[90:91]
	s_and_b64 s[88:89], exec, s[92:93]
	s_or_b64 s[74:75], s[88:89], s[74:75]
	s_andn2_b64 s[76:77], s[76:77], exec
	s_and_b64 s[88:89], s[78:79], exec
	s_or_b64 s[76:77], s[76:77], s[88:89]
	s_andn2_b64 exec, exec, s[74:75]
	s_cbranch_execz .LBB2_156
.LBB2_152:                              ;   Parent Loop BB2_49 Depth=1
                                        ; =>  This Inner Loop Header: Depth=2
	s_add_i32 s94, s94, 1
	s_cmpk_lg_i32 s94, 0x2710
	s_cselect_b64 s[88:89], -1, 0
	s_and_b64 vcc, exec, s[88:89]
	s_cbranch_vccz .LBB2_154
; %bb.153:                              ;   in Loop: Header=BB2_152 Depth=2
	s_mov_b64 s[92:93], -1
	s_or_b64 s[78:79], s[78:79], exec
	s_and_saveexec_b64 s[90:91], s[88:89]
	s_cbranch_execz .LBB2_151
	s_branch .LBB2_155
.LBB2_154:                              ;   in Loop: Header=BB2_152 Depth=2
	s_trap 2
	ds_read_b64 v[2:3], v0
	s_andn2_b64 s[88:89], s[88:89], exec
	s_mov_b32 s94, 0
	s_waitcnt lgkmcnt(0)
	flat_load_dword v2, v[2:3] glc
	s_waitcnt vmcnt(0) lgkmcnt(0)
	buffer_wbinvl1_vol
	v_cmp_eq_u32_e32 vcc, 0, v2
	s_and_b64 s[90:91], vcc, exec
	s_or_b64 s[88:89], s[88:89], s[90:91]
	s_mov_b64 s[92:93], -1
	s_or_b64 s[78:79], s[78:79], exec
	s_and_saveexec_b64 s[90:91], s[88:89]
	s_cbranch_execz .LBB2_151
.LBB2_155:                              ;   in Loop: Header=BB2_152 Depth=2
	s_sleep 1
	s_trap 2
	ds_read_b64 v[2:3], v0
	s_waitcnt lgkmcnt(0)
	s_andn2_b64 s[78:79], s[78:79], exec
	v_cmp_ge_u64_e32 vcc, v[2:3], v[10:11]
	s_orn2_b64 s[92:93], vcc, exec
	s_branch .LBB2_151
.LBB2_156:                              ;   in Loop: Header=BB2_49 Depth=1
	s_or_b64 exec, exec, s[74:75]
	s_and_saveexec_b64 s[74:75], s[76:77]
	s_xor_b64 s[74:75], exec, s[74:75]
	s_cbranch_execz .LBB2_158
; %bb.157:                              ;   in Loop: Header=BB2_49 Depth=1
	ds_write_b32 v0, v41
	s_trap 2
.LBB2_158:                              ;   in Loop: Header=BB2_49 Depth=1
	s_or_b64 exec, exec, s[72:73]
	;;#ASMSTART
	s_wakeup
	;;#ASMEND
.LBB2_159:                              ;   in Loop: Header=BB2_49 Depth=1
	s_or_b64 exec, exec, s[62:63]
.LBB2_160:                              ;   in Loop: Header=BB2_49 Depth=1
	s_andn2_saveexec_b64 s[60:61], s[60:61]
	s_cbranch_execz .LBB2_162
; %bb.161:                              ;   in Loop: Header=BB2_49 Depth=1
	s_waitcnt vmcnt(0) lgkmcnt(0)
	buffer_wbinvl1_vol
	s_barrier
.LBB2_162:                              ;   in Loop: Header=BB2_49 Depth=1
	s_or_b64 exec, exec, s[60:61]
.LBB2_163:                              ;   in Loop: Header=BB2_49 Depth=1
	s_or_b64 exec, exec, s[58:59]
	v_and_b32_e32 v2, 16, v53
	v_cmp_ne_u32_e32 vcc, 0, v2
	s_and_b64 s[58:59], vcc, s[20:21]
	s_and_saveexec_b64 s[20:21], s[58:59]
	s_cbranch_execz .LBB2_165
; %bb.164:                              ;   in Loop: Header=BB2_49 Depth=1
	s_waitcnt vmcnt(0) lgkmcnt(0)
	buffer_wbinvl1_vol
.LBB2_165:                              ;   in Loop: Header=BB2_49 Depth=1
	s_or_b64 exec, exec, s[20:21]
	v_cmp_ne_u32_e32 vcc, 0, v2
	s_xor_b64 s[20:21], s[18:19], -1
	s_and_b64 s[58:59], vcc, s[20:21]
	s_and_saveexec_b64 s[20:21], s[58:59]
	s_cbranch_execz .LBB2_167
; %bb.166:                              ;   in Loop: Header=BB2_49 Depth=1
	s_waitcnt vmcnt(0)
	flat_store_dword v[24:25], v41
.LBB2_167:                              ;   in Loop: Header=BB2_49 Depth=1
	s_or_b64 exec, exec, s[20:21]
	v_and_b32_e32 v2, 48, v53
	v_cmp_ne_u32_e32 vcc, 0, v2
	s_and_saveexec_b64 s[20:21], vcc
	s_cbranch_execz .LBB2_169
; %bb.168:                              ;   in Loop: Header=BB2_49 Depth=1
	v_add_co_u32_e32 v8, vcc, 1, v8
	v_addc_co_u32_e32 v9, vcc, 0, v9, vcc
	flat_store_dwordx2 v[18:19], v[8:9]
.LBB2_169:                              ;   in Loop: Header=BB2_49 Depth=1
	s_or_b64 exec, exec, s[20:21]
	v_mov_b32_e32 v2, v57
.LBB2_170:                              ;   in Loop: Header=BB2_49 Depth=1
	s_or_b64 exec, exec, s[56:57]
	s_and_saveexec_b64 s[56:57], s[46:47]
	s_cbranch_execz .LBB2_48
; %bb.171:                              ;   in Loop: Header=BB2_49 Depth=1
	v_sub_u32_e32 v2, v32, v2
	v_min_i32_e32 v32, v57, v2
	v_and_b32_e32 v2, 12, v53
	v_cmp_ne_u32_e32 vcc, 0, v2
	s_and_saveexec_b64 s[46:47], vcc
	s_cbranch_execz .LBB2_197
; %bb.172:                              ;   in Loop: Header=BB2_49 Depth=1
	v_and_b32_e32 v27, 8, v53
	s_waitcnt vmcnt(0)
	v_add_co_u32_e32 v2, vcc, v22, v27
	v_addc_co_u32_e32 v3, vcc, 0, v23, vcc
	v_add_co_u32_e32 v34, vcc, 1, v8
	v_addc_co_u32_e32 v35, vcc, 0, v9, vcc
	v_cmp_lt_u64_e32 vcc, v[2:3], v[34:35]
	s_and_saveexec_b64 s[58:59], vcc
	s_cbranch_execz .LBB2_184
; %bb.173:                              ;   in Loop: Header=BB2_49 Depth=1
	v_and_b32_e32 v2, 64, v53
	s_mov_b32 s94, 0
	v_cmp_eq_u32_e32 vcc, 0, v2
	s_mov_b64 s[60:61], 0
                                        ; implicit-def: $sgpr62_sgpr63
                                        ; implicit-def: $sgpr72_sgpr73
                                        ; implicit-def: $sgpr74_sgpr75
	s_branch .LBB2_177
.LBB2_174:                              ;   in Loop: Header=BB2_177 Depth=2
	s_waitcnt vmcnt(0) lgkmcnt(0)
	v_add_co_u32_e64 v14, s[20:21], v22, v27
	v_addc_co_u32_e64 v15, s[20:21], 0, v23, s[20:21]
	v_cmp_ge_u64_e64 s[20:21], v[14:15], v[34:35]
	s_or_b64 s[88:89], s[88:89], exec
	s_orn2_b64 s[78:79], s[20:21], exec
.LBB2_175:                              ;   in Loop: Header=BB2_177 Depth=2
	s_or_b64 exec, exec, s[92:93]
	s_andn2_b64 s[20:21], s[74:75], exec
	s_and_b64 s[74:75], s[88:89], exec
	s_or_b64 s[74:75], s[20:21], s[74:75]
	s_andn2_b64 s[20:21], s[72:73], exec
	s_and_b64 s[72:73], s[78:79], exec
	s_or_b64 s[72:73], s[20:21], s[72:73]
.LBB2_176:                              ;   in Loop: Header=BB2_177 Depth=2
	s_or_b64 exec, exec, s[76:77]
	s_and_b64 s[20:21], exec, s[72:73]
	s_or_b64 s[60:61], s[20:21], s[60:61]
	s_andn2_b64 s[20:21], s[62:63], exec
	s_and_b64 s[62:63], s[74:75], exec
	s_or_b64 s[62:63], s[20:21], s[62:63]
	s_andn2_b64 exec, exec, s[60:61]
	s_cbranch_execz .LBB2_181
.LBB2_177:                              ;   Parent Loop BB2_49 Depth=1
                                        ; =>  This Inner Loop Header: Depth=2
	s_sleep 1
	s_waitcnt vmcnt(0) lgkmcnt(0)
	flat_load_dwordx2 v[22:23], v[18:19] glc
	s_or_b64 s[74:75], s[74:75], exec
	s_or_b64 s[72:73], s[72:73], exec
                                        ; implicit-def: $vgpr2
	s_and_saveexec_b64 s[76:77], vcc
	s_cbranch_execz .LBB2_176
; %bb.178:                              ;   in Loop: Header=BB2_177 Depth=2
	s_cmpk_lt_i32 s94, 0x270f
	s_cselect_b64 s[90:91], -1, 0
	s_cmpk_gt_i32 s94, 0x270e
	s_mov_b64 s[78:79], -1
	s_cbranch_scc0 .LBB2_180
; %bb.179:                              ;   in Loop: Header=BB2_177 Depth=2
	s_trap 2
	ds_read_b64 v[2:3], v0
	s_andn2_b64 s[90:91], s[90:91], exec
	s_mov_b32 s94, 0
	s_mov_b64 s[88:89], 0
	s_waitcnt vmcnt(0) lgkmcnt(0)
	flat_load_dword v2, v[2:3] glc
	s_waitcnt vmcnt(0) lgkmcnt(0)
	buffer_wbinvl1_vol
	v_cmp_eq_u32_e64 s[20:21], 0, v2
	s_and_b64 s[20:21], s[20:21], exec
	s_or_b64 s[90:91], s[90:91], s[20:21]
	s_and_saveexec_b64 s[92:93], s[90:91]
	s_cbranch_execz .LBB2_175
	s_branch .LBB2_174
.LBB2_180:                              ;   in Loop: Header=BB2_177 Depth=2
	s_add_i32 s94, s94, 1
	s_mov_b64 s[88:89], -1
                                        ; implicit-def: $vgpr2
	s_and_saveexec_b64 s[92:93], s[90:91]
	s_cbranch_execz .LBB2_175
	s_branch .LBB2_174
.LBB2_181:                              ;   in Loop: Header=BB2_49 Depth=1
	s_or_b64 exec, exec, s[60:61]
	s_xor_b64 s[20:21], s[62:63], -1
	s_and_saveexec_b64 s[60:61], s[20:21]
	s_xor_b64 s[20:21], exec, s[60:61]
	s_cbranch_execz .LBB2_183
; %bb.182:                              ;   in Loop: Header=BB2_49 Depth=1
	v_or_b32_e32 v53, 64, v53
	s_waitcnt lgkmcnt(0)
	ds_write_b32 v0, v2
	s_trap 2
.LBB2_183:                              ;   in Loop: Header=BB2_49 Depth=1
	s_or_b64 exec, exec, s[20:21]
.LBB2_184:                              ;   in Loop: Header=BB2_49 Depth=1
	s_or_b64 exec, exec, s[58:59]
	v_and_b32_e32 v2, 0x108, v53
	v_cmp_ne_u32_e32 vcc, s34, v2
	v_and_b32_e32 v2, 7, v8
	;;#ASMSTART
	s_wakeup
	;;#ASMEND
	s_and_saveexec_b64 s[20:21], vcc
	s_xor_b64 s[20:21], exec, s[20:21]
                                        ; implicit-def: $vgpr3
; %bb.185:                              ;   in Loop: Header=BB2_49 Depth=1
	v_mov_b32_e32 v3, v46
; %bb.186:                              ;   in Loop: Header=BB2_49 Depth=1
	s_andn2_saveexec_b64 s[20:21], s[20:21]
	s_cbranch_execz .LBB2_188
; %bb.187:                              ;   in Loop: Header=BB2_49 Depth=1
	v_mad_u64_u32 v[8:9], s[58:59], v2, 24, v[6:7]
	v_ashrrev_i32_e32 v33, 31, v32
	v_lshlrev_b64 v[14:15], 1, v[32:33]
	v_mov_b32_e32 v3, v46
	flat_store_dwordx2 v[8:9], v[14:15] offset:8
.LBB2_188:                              ;   in Loop: Header=BB2_49 Depth=1
	s_or_b64 exec, exec, s[20:21]
	v_and_b32_e32 v8, 0x100, v53
	v_cmp_ne_u32_e32 vcc, 0, v8
	s_mov_b64 s[20:21], -1
                                        ; implicit-def: $vgpr8_vgpr9
	s_and_saveexec_b64 s[58:59], vcc
	s_cbranch_execz .LBB2_192
; %bb.189:                              ;   in Loop: Header=BB2_49 Depth=1
	v_mad_u64_u32 v[36:37], s[20:21], v2, 24, v[6:7]
	v_mov_b32_e32 v8, v37
	v_mad_u64_u32 v[8:9], s[20:21], v3, 24, v[8:9]
	v_mov_b32_e32 v37, v8
	flat_load_dword v8, v[36:37]
	s_waitcnt vmcnt(0) lgkmcnt(0)
	v_cmp_ne_u32_e32 vcc, 1, v8
	v_cmp_eq_u32_e64 s[20:21], 1, v8
                                        ; implicit-def: $vgpr8_vgpr9
	s_and_saveexec_b64 s[60:61], s[20:21]
	s_cbranch_execz .LBB2_191
; %bb.190:                              ;   in Loop: Header=BB2_49 Depth=1
	flat_load_dword v8, v[36:37] offset:4 glc
	s_waitcnt vmcnt(0) lgkmcnt(0)
	v_ashrrev_i32_e32 v9, 31, v8
	v_lshrrev_b64 v[8:9], 1, v[8:9]
.LBB2_191:                              ;   in Loop: Header=BB2_49 Depth=1
	s_or_b64 exec, exec, s[60:61]
	s_orn2_b64 s[20:21], vcc, exec
.LBB2_192:                              ;   in Loop: Header=BB2_49 Depth=1
	s_or_b64 exec, exec, s[58:59]
	s_and_saveexec_b64 s[58:59], s[20:21]
	s_cbranch_execz .LBB2_194
; %bb.193:                              ;   in Loop: Header=BB2_49 Depth=1
	v_mul_lo_u32 v3, v3, v61
	v_mul_lo_u32 v14, v2, v56
	v_mad_u64_u32 v[8:9], s[20:21], v2, v61, 0
	v_add3_u32 v9, v9, v14, v3
.LBB2_194:                              ;   in Loop: Header=BB2_49 Depth=1
	s_or_b64 exec, exec, s[58:59]
	v_lshlrev_b64 v[2:3], 1, v[8:9]
	v_cmp_eq_u32_e32 vcc, 0, v27
	v_cndmask_b32_e32 v14, v52, v40, vcc
	v_add_co_u32_e32 v2, vcc, v20, v2
	v_addc_co_u32_e32 v3, vcc, v21, v3, vcc
	v_add_u32_e32 v8, v0, v14
	ds_write_b64 v8, v[2:3] offset:584
	v_and_b32_e32 v2, 0x2000, v53
	v_cmp_ne_u32_e32 vcc, 0, v2
	s_and_saveexec_b64 s[20:21], vcc
	s_cbranch_execz .LBB2_196
; %bb.195:                              ;   in Loop: Header=BB2_49 Depth=1
	ds_read_b64 v[2:3], v0 offset:872
	s_waitcnt lgkmcnt(0)
	v_add_co_u32_e32 v2, vcc, 1, v2
	v_addc_co_u32_e32 v3, vcc, 0, v3, vcc
	ds_write_b64 v0, v[2:3] offset:872
.LBB2_196:                              ;   in Loop: Header=BB2_49 Depth=1
	s_or_b64 exec, exec, s[20:21]
	v_mov_b32_e32 v8, v34
	v_mov_b32_e32 v9, v35
.LBB2_197:                              ;   in Loop: Header=BB2_49 Depth=1
	s_or_b64 exec, exec, s[46:47]
	s_and_saveexec_b64 s[20:21], s[10:11]
	s_cbranch_execz .LBB2_216
; %bb.198:                              ;   in Loop: Header=BB2_49 Depth=1
	s_and_saveexec_b64 s[46:47], s[40:41]
	s_xor_b64 s[46:47], exec, s[46:47]
	s_cbranch_execz .LBB2_213
; %bb.199:                              ;   in Loop: Header=BB2_49 Depth=1
	s_and_saveexec_b64 s[58:59], s[12:13]
	s_cbranch_execz .LBB2_212
; %bb.200:                              ;   in Loop: Header=BB2_49 Depth=1
	s_mov_b64 s[62:63], exec
	v_mbcnt_lo_u32_b32 v2, s62, 0
	v_mbcnt_hi_u32_b32 v2, s63, v2
	v_cmp_eq_u32_e32 vcc, 0, v2
	s_waitcnt vmcnt(0) lgkmcnt(0)
	buffer_wbinvl1_vol
	s_and_saveexec_b64 s[60:61], vcc
	s_cbranch_execz .LBB2_202
; %bb.201:                              ;   in Loop: Header=BB2_49 Depth=1
	s_bcnt1_i32_b64 s62, s[62:63]
	v_mov_b32_e32 v2, s62
	v_mov_b32_e32 v3, v46
	ds_add_u64 v0, v[2:3]
	s_trap 2
.LBB2_202:                              ;   in Loop: Header=BB2_49 Depth=1
	s_or_b64 exec, exec, s[60:61]
	s_trap 2
	ds_read_b64 v[2:3], v0
	s_waitcnt lgkmcnt(0)
	v_add_co_u32_e32 v10, vcc, v10, v39
	v_addc_co_u32_e32 v11, vcc, 0, v11, vcc
	v_cmp_lt_u64_e32 vcc, v[2:3], v[10:11]
	s_and_saveexec_b64 s[60:61], vcc
	s_cbranch_execz .LBB2_211
; %bb.203:                              ;   in Loop: Header=BB2_49 Depth=1
	s_mov_b32 s90, 0
	s_mov_b64 s[62:63], 0
                                        ; implicit-def: $sgpr72_sgpr73
                                        ; implicit-def: $sgpr74_sgpr75
	s_branch .LBB2_205
.LBB2_204:                              ;   in Loop: Header=BB2_205 Depth=2
	s_or_b64 exec, exec, s[78:79]
	s_and_b64 s[76:77], exec, s[88:89]
	s_or_b64 s[62:63], s[76:77], s[62:63]
	s_andn2_b64 s[72:73], s[72:73], exec
	s_and_b64 s[76:77], s[74:75], exec
	s_or_b64 s[72:73], s[72:73], s[76:77]
	s_andn2_b64 exec, exec, s[62:63]
	s_cbranch_execz .LBB2_209
.LBB2_205:                              ;   Parent Loop BB2_49 Depth=1
                                        ; =>  This Inner Loop Header: Depth=2
	s_add_i32 s90, s90, 1
	s_cmpk_lg_i32 s90, 0x2710
	s_cselect_b64 s[76:77], -1, 0
	s_and_b64 vcc, exec, s[76:77]
	s_cbranch_vccz .LBB2_207
; %bb.206:                              ;   in Loop: Header=BB2_205 Depth=2
	s_mov_b64 s[88:89], -1
	s_or_b64 s[74:75], s[74:75], exec
	s_and_saveexec_b64 s[78:79], s[76:77]
	s_cbranch_execz .LBB2_204
	s_branch .LBB2_208
.LBB2_207:                              ;   in Loop: Header=BB2_205 Depth=2
	s_trap 2
	ds_read_b64 v[2:3], v0
	s_andn2_b64 s[76:77], s[76:77], exec
	s_mov_b32 s90, 0
	s_waitcnt lgkmcnt(0)
	flat_load_dword v2, v[2:3] glc
	s_waitcnt vmcnt(0) lgkmcnt(0)
	buffer_wbinvl1_vol
	v_cmp_eq_u32_e32 vcc, 0, v2
	s_and_b64 s[78:79], vcc, exec
	s_or_b64 s[76:77], s[76:77], s[78:79]
	s_mov_b64 s[88:89], -1
	s_or_b64 s[74:75], s[74:75], exec
	s_and_saveexec_b64 s[78:79], s[76:77]
	s_cbranch_execz .LBB2_204
.LBB2_208:                              ;   in Loop: Header=BB2_205 Depth=2
	s_sleep 1
	s_trap 2
	ds_read_b64 v[2:3], v0
	s_waitcnt lgkmcnt(0)
	s_andn2_b64 s[74:75], s[74:75], exec
	v_cmp_ge_u64_e32 vcc, v[2:3], v[10:11]
	s_orn2_b64 s[88:89], vcc, exec
	s_branch .LBB2_204
.LBB2_209:                              ;   in Loop: Header=BB2_49 Depth=1
	s_or_b64 exec, exec, s[62:63]
	s_and_saveexec_b64 s[62:63], s[72:73]
	s_xor_b64 s[62:63], exec, s[62:63]
	s_cbranch_execz .LBB2_211
; %bb.210:                              ;   in Loop: Header=BB2_49 Depth=1
	ds_write_b32 v0, v41
	s_trap 2
.LBB2_211:                              ;   in Loop: Header=BB2_49 Depth=1
	s_or_b64 exec, exec, s[60:61]
	;;#ASMSTART
	s_wakeup
	;;#ASMEND
.LBB2_212:                              ;   in Loop: Header=BB2_49 Depth=1
	s_or_b64 exec, exec, s[58:59]
.LBB2_213:                              ;   in Loop: Header=BB2_49 Depth=1
	s_andn2_saveexec_b64 s[46:47], s[46:47]
	s_cbranch_execz .LBB2_215
; %bb.214:                              ;   in Loop: Header=BB2_49 Depth=1
	s_waitcnt vmcnt(0) lgkmcnt(0)
	buffer_wbinvl1_vol
	s_barrier
.LBB2_215:                              ;   in Loop: Header=BB2_49 Depth=1
	s_or_b64 exec, exec, s[46:47]
.LBB2_216:                              ;   in Loop: Header=BB2_49 Depth=1
	s_or_b64 exec, exec, s[20:21]
	s_trap 2
	ds_read_b32 v3, v0
	v_cmp_lt_i32_e32 vcc, 0, v32
	v_and_b32_e32 v2, 16, v53
	s_waitcnt lgkmcnt(0)
	v_readfirstlane_b32 s20, v3
	s_cmp_eq_u32 s20, 0
	s_cselect_b64 s[20:21], -1, 0
	s_and_b64 s[20:21], vcc, s[20:21]
	v_cmp_ne_u32_e32 vcc, 0, v2
	s_and_b64 s[46:47], vcc, s[20:21]
	s_and_saveexec_b64 s[20:21], s[46:47]
	s_cbranch_execz .LBB2_218
; %bb.217:                              ;   in Loop: Header=BB2_49 Depth=1
	s_waitcnt vmcnt(0)
	buffer_wbinvl1_vol
.LBB2_218:                              ;   in Loop: Header=BB2_49 Depth=1
	s_or_b64 exec, exec, s[20:21]
	v_cmp_ne_u32_e32 vcc, 0, v2
	s_xor_b64 s[20:21], s[18:19], -1
	s_and_b64 s[46:47], vcc, s[20:21]
	s_and_saveexec_b64 s[20:21], s[46:47]
	s_cbranch_execz .LBB2_220
; %bb.219:                              ;   in Loop: Header=BB2_49 Depth=1
	s_waitcnt vmcnt(0)
	flat_store_dword v[24:25], v41
.LBB2_220:                              ;   in Loop: Header=BB2_49 Depth=1
	s_or_b64 exec, exec, s[20:21]
	v_and_b32_e32 v2, 48, v53
	v_cmp_ne_u32_e32 vcc, 0, v2
	s_and_saveexec_b64 s[20:21], vcc
	s_cbranch_execz .LBB2_47
; %bb.221:                              ;   in Loop: Header=BB2_49 Depth=1
	v_add_co_u32_e32 v8, vcc, 1, v8
	v_addc_co_u32_e32 v9, vcc, 0, v9, vcc
	flat_store_dwordx2 v[18:19], v[8:9]
	s_branch .LBB2_47
.LBB2_222:
	s_or_b64 exec, exec, s[42:43]
	buffer_load_dword v14, off, s[0:3], s33 offset:60 ; 4-byte Folded Reload
	buffer_load_dword v15, off, s[0:3], s33 offset:64 ; 4-byte Folded Reload
.LBB2_223:
	s_or_b64 exec, exec, s[28:29]
                                        ; implicit-def: $vgpr54_vgpr55
                                        ; implicit-def: $vgpr4_vgpr5
                                        ; implicit-def: $vgpr61
                                        ; implicit-def: $vgpr22_vgpr23
                                        ; implicit-def: $vgpr20_vgpr21
                                        ; implicit-def: $vgpr18_vgpr19
                                        ; implicit-def: $vgpr0
                                        ; implicit-def: $vgpr36
                                        ; implicit-def: $vgpr12
.LBB2_224:
	s_andn2_saveexec_b64 s[20:21], s[26:27]
	s_cbranch_execz .LBB2_392
; %bb.225:
	v_mov_b32_e32 v10, 0
	v_cmp_ne_u64_e32 vcc, 0, v[4:5]
	v_mov_b32_e32 v11, 0
	s_and_saveexec_b64 s[26:27], vcc
	s_cbranch_execz .LBB2_391
; %bb.226:
	v_and_b32_e32 v2, 63, v31
	v_cmp_eq_u32_e64 s[12:13], 0, v2
	v_ashrrev_i32_e32 v2, 31, v0
	v_lshrrev_b32_e32 v2, 26, v2
	v_add_u32_e32 v2, v0, v2
	s_lshr_b32 s6, s30, 27
	v_and_b32_e32 v3, 0xffffffc0, v2
	v_ashrrev_i32_e32 v2, 6, v2
	s_waitcnt vmcnt(0)
	buffer_store_dword v14, off, s[0:3], s33 offset:60 ; 4-byte Folded Spill
	s_nop 0
	buffer_store_dword v15, off, s[0:3], s33 offset:64 ; 4-byte Folded Spill
	s_add_i32 s6, s30, s6
	s_trap 2
	v_cmp_eq_u32_e32 vcc, 64, v1
	buffer_store_dword v62, off, s[0:3], s33 offset:84 ; 4-byte Folded Spill
	v_cmp_ne_u32_sdwa s[28:29], v1, v62 src0_sel:DWORD src1_sel:WORD_0
	buffer_store_dword v31, off, s[0:3], s33 offset:68 ; 4-byte Folded Spill
	v_lshrrev_b32_e32 v48, 6, v1
	v_sub_u32_e32 v31, v0, v3
	v_sub_u32_e32 v62, 0, v2
	v_lshlrev_b32_e32 v43, 4, v0
	v_lshlrev_b32_e32 v2, 1, v1
	v_mov_b32_e32 v26, 0
	v_mov_b32_e32 v10, 0
	s_ashr_i32 s94, s6, 5
	v_cmp_ge_i32_e64 s[6:7], v0, v1
	v_cmp_ne_u32_e64 s[10:11], 64, v1
	s_waitcnt lgkmcnt(0)
	v_mov_b32_e32 v25, 0
	v_cmp_le_i32_e64 s[14:15], v31, v36
	v_cmp_gt_i32_e64 s[16:17], 1, v31
	v_ashrrev_i32_e32 v60, 31, v43
	v_lshlrev_b32_e32 v40, 10, v48
	v_lshlrev_b32_e32 v41, 9, v48
	v_and_b32_e32 v42, 0x7f80, v2
	s_mov_b64 s[40:41], 0
	v_mov_b32_e32 v27, 0
	v_mov_b32_e32 v11, 0
	s_xor_b64 s[42:43], vcc, -1
	s_branch .LBB2_229
.LBB2_227:                              ;   in Loop: Header=BB2_229 Depth=1
	s_or_b64 exec, exec, s[18:19]
.LBB2_228:                              ;   in Loop: Header=BB2_229 Depth=1
	s_or_b64 exec, exec, s[46:47]
	v_add_co_u32_e32 v26, vcc, v26, v12
	v_addc_co_u32_e32 v27, vcc, 0, v27, vcc
	v_cmp_ge_u64_e32 vcc, v[26:27], v[4:5]
	s_or_b64 s[40:41], vcc, s[40:41]
	s_andn2_b64 exec, exec, s[40:41]
	s_cbranch_execz .LBB2_390
.LBB2_229:                              ; =>This Loop Header: Depth=1
                                        ;     Child Loop BB2_238 Depth 2
                                        ;     Child Loop BB2_262 Depth 2
	;; [unrolled: 1-line block ×10, first 2 shown]
	v_sub_co_u32_e32 v2, vcc, v4, v26
	v_subb_co_u32_e32 v3, vcc, v5, v27, vcc
	v_cmp_lt_u64_e32 vcc, v[12:13], v[2:3]
	v_mov_b32_e32 v34, 0
	v_cndmask_b32_e64 v29, v3, 0, vcc
	v_cndmask_b32_e32 v28, v2, v12, vcc
	v_cmp_eq_u64_e32 vcc, 0, v[28:29]
	v_add_u32_e32 v2, 15, v28
	v_and_b32_e32 v2, 0x3ffffff0, v2
	s_or_b64 s[44:45], s[6:7], vcc
	v_max_i32_e32 v44, s94, v2
	s_xor_b64 s[18:19], s[44:45], -1
	s_and_saveexec_b64 s[46:47], s[18:19]
	s_cbranch_execz .LBB2_344
; %bb.230:                              ;   in Loop: Header=BB2_229 Depth=1
	s_and_saveexec_b64 s[18:19], s[4:5]
	s_cbranch_execz .LBB2_232
; %bb.231:                              ;   in Loop: Header=BB2_229 Depth=1
	s_trap 2
	ds_read2_b64 v[32:35], v0 offset1:1
	ds_read_b64 v[14:15], v0
	v_add_co_u32_e32 v2, vcc, v26, v54
	v_addc_co_u32_e32 v3, vcc, v27, v55, vcc
	v_lshlrev_b64 v[2:3], 1, v[2:3]
	s_waitcnt lgkmcnt(0)
	v_add_co_u32_e32 v16, vcc, v32, v2
	v_addc_co_u32_e32 v17, vcc, v33, v3, vcc
	ds_write_b64 v0, v[16:17]
	v_add_co_u32_e32 v16, vcc, v34, v2
	v_addc_co_u32_e32 v17, vcc, v35, v3, vcc
	s_waitcnt lgkmcnt(1)
	v_add_co_u32_e32 v2, vcc, v14, v2
	v_addc_co_u32_e32 v3, vcc, v15, v3, vcc
	v_cmp_ne_u64_e32 vcc, 0, v[14:15]
	ds_write_b64 v0, v[16:17]
	v_cndmask_b32_e32 v3, 0, v3, vcc
	v_cndmask_b32_e32 v2, 0, v2, vcc
	ds_write_b64 v0, v[2:3]
.LBB2_232:                              ;   in Loop: Header=BB2_229 Depth=1
	s_or_b64 exec, exec, s[18:19]
	v_and_b32_e32 v2, 4, v53
	v_cmp_ne_u32_e32 vcc, 0, v2
	s_and_saveexec_b64 s[56:57], vcc
	s_cbranch_execz .LBB2_254
; %bb.233:                              ;   in Loop: Header=BB2_229 Depth=1
	v_add_co_u32_e32 v29, vcc, 1, v8
	v_addc_co_u32_e32 v30, vcc, 0, v9, vcc
	s_waitcnt vmcnt(0)
	v_cmp_lt_u64_e32 vcc, v[22:23], v[29:30]
	s_and_saveexec_b64 s[58:59], vcc
	s_cbranch_execz .LBB2_245
; %bb.234:                              ;   in Loop: Header=BB2_229 Depth=1
	v_and_b32_e32 v2, 64, v53
	s_mov_b32 s95, 0
	v_cmp_eq_u32_e32 vcc, 0, v2
	s_mov_b64 s[60:61], 0
                                        ; implicit-def: $sgpr62_sgpr63
                                        ; implicit-def: $sgpr72_sgpr73
                                        ; implicit-def: $sgpr74_sgpr75
	s_branch .LBB2_238
.LBB2_235:                              ;   in Loop: Header=BB2_238 Depth=2
	s_waitcnt vmcnt(0) lgkmcnt(0)
	v_cmp_ge_u64_e64 s[18:19], v[22:23], v[29:30]
	s_or_b64 s[88:89], s[88:89], exec
	s_orn2_b64 s[78:79], s[18:19], exec
.LBB2_236:                              ;   in Loop: Header=BB2_238 Depth=2
	s_or_b64 exec, exec, s[92:93]
	s_andn2_b64 s[18:19], s[74:75], exec
	s_and_b64 s[74:75], s[88:89], exec
	s_or_b64 s[74:75], s[18:19], s[74:75]
	s_andn2_b64 s[18:19], s[72:73], exec
	s_and_b64 s[72:73], s[78:79], exec
	s_or_b64 s[72:73], s[18:19], s[72:73]
.LBB2_237:                              ;   in Loop: Header=BB2_238 Depth=2
	s_or_b64 exec, exec, s[76:77]
	s_and_b64 s[18:19], exec, s[72:73]
	s_or_b64 s[60:61], s[18:19], s[60:61]
	s_andn2_b64 s[18:19], s[62:63], exec
	s_and_b64 s[62:63], s[74:75], exec
	s_or_b64 s[62:63], s[18:19], s[62:63]
	s_andn2_b64 exec, exec, s[60:61]
	s_cbranch_execz .LBB2_242
.LBB2_238:                              ;   Parent Loop BB2_229 Depth=1
                                        ; =>  This Inner Loop Header: Depth=2
	s_sleep 1
	s_waitcnt vmcnt(0) lgkmcnt(0)
	flat_load_dwordx2 v[22:23], v[18:19] glc
	s_or_b64 s[74:75], s[74:75], exec
	s_or_b64 s[72:73], s[72:73], exec
                                        ; implicit-def: $vgpr2
	s_and_saveexec_b64 s[76:77], vcc
	s_cbranch_execz .LBB2_237
; %bb.239:                              ;   in Loop: Header=BB2_238 Depth=2
	s_cmpk_lt_i32 s95, 0x270f
	s_cselect_b64 s[90:91], -1, 0
	s_cmpk_gt_i32 s95, 0x270e
	s_mov_b64 s[78:79], -1
	s_cbranch_scc0 .LBB2_241
; %bb.240:                              ;   in Loop: Header=BB2_238 Depth=2
	s_trap 2
	ds_read_b64 v[2:3], v0
	s_andn2_b64 s[90:91], s[90:91], exec
	s_mov_b32 s95, 0
	s_mov_b64 s[88:89], 0
	s_waitcnt vmcnt(0) lgkmcnt(0)
	flat_load_dword v2, v[2:3] glc
	s_waitcnt vmcnt(0) lgkmcnt(0)
	buffer_wbinvl1_vol
	v_cmp_eq_u32_e64 s[18:19], 0, v2
	s_and_b64 s[18:19], s[18:19], exec
	s_or_b64 s[90:91], s[90:91], s[18:19]
	s_and_saveexec_b64 s[92:93], s[90:91]
	s_cbranch_execz .LBB2_236
	s_branch .LBB2_235
.LBB2_241:                              ;   in Loop: Header=BB2_238 Depth=2
	s_add_i32 s95, s95, 1
	s_mov_b64 s[88:89], -1
                                        ; implicit-def: $vgpr2
	s_and_saveexec_b64 s[92:93], s[90:91]
	s_cbranch_execz .LBB2_236
	s_branch .LBB2_235
.LBB2_242:                              ;   in Loop: Header=BB2_229 Depth=1
	s_or_b64 exec, exec, s[60:61]
	s_xor_b64 s[18:19], s[62:63], -1
	s_and_saveexec_b64 s[60:61], s[18:19]
	s_xor_b64 s[18:19], exec, s[60:61]
	s_cbranch_execz .LBB2_244
; %bb.243:                              ;   in Loop: Header=BB2_229 Depth=1
	v_or_b32_e32 v53, 64, v53
	s_waitcnt lgkmcnt(0)
	ds_write_b32 v0, v2
	s_trap 2
.LBB2_244:                              ;   in Loop: Header=BB2_229 Depth=1
	s_or_b64 exec, exec, s[18:19]
.LBB2_245:                              ;   in Loop: Header=BB2_229 Depth=1
	s_or_b64 exec, exec, s[58:59]
	v_and_b32_e32 v2, 0x100, v53
	v_cmp_ne_u32_e32 vcc, 0, v2
	v_and_b32_e32 v2, 7, v8
	s_mov_b64 s[18:19], -1
	;;#ASMSTART
	s_wakeup
	;;#ASMEND
                                        ; implicit-def: $vgpr8_vgpr9
	s_and_saveexec_b64 s[58:59], vcc
	s_cbranch_execz .LBB2_249
; %bb.246:                              ;   in Loop: Header=BB2_229 Depth=1
	v_mad_u64_u32 v[32:33], s[18:19], v2, 24, v[6:7]
                                        ; implicit-def: $vgpr8_vgpr9
	flat_load_dword v3, v[32:33]
	s_waitcnt vmcnt(0) lgkmcnt(0)
	v_cmp_ne_u32_e32 vcc, 1, v3
	v_cmp_eq_u32_e64 s[18:19], 1, v3
	s_and_saveexec_b64 s[60:61], s[18:19]
	s_cbranch_execz .LBB2_248
; %bb.247:                              ;   in Loop: Header=BB2_229 Depth=1
	flat_load_dword v8, v[32:33] offset:4 glc
	s_waitcnt vmcnt(0) lgkmcnt(0)
	v_ashrrev_i32_e32 v9, 31, v8
	v_lshrrev_b64 v[8:9], 1, v[8:9]
.LBB2_248:                              ;   in Loop: Header=BB2_229 Depth=1
	s_or_b64 exec, exec, s[60:61]
	s_orn2_b64 s[18:19], vcc, exec
.LBB2_249:                              ;   in Loop: Header=BB2_229 Depth=1
	s_or_b64 exec, exec, s[58:59]
	s_and_saveexec_b64 s[58:59], s[18:19]
; %bb.250:                              ;   in Loop: Header=BB2_229 Depth=1
	v_mad_i64_i32 v[8:9], s[18:19], v2, v61, 0
; %bb.251:                              ;   in Loop: Header=BB2_229 Depth=1
	s_or_b64 exec, exec, s[58:59]
	v_lshlrev_b64 v[2:3], 1, v[8:9]
	v_add_co_u32_e32 v2, vcc, v20, v2
	v_addc_co_u32_e32 v3, vcc, v21, v3, vcc
	ds_write_b64 v0, v[2:3] offset:728
	v_and_b32_e32 v2, 0x2000, v53
	v_cmp_ne_u32_e32 vcc, 0, v2
	s_and_saveexec_b64 s[18:19], vcc
	s_cbranch_execz .LBB2_253
; %bb.252:                              ;   in Loop: Header=BB2_229 Depth=1
	ds_read_b64 v[2:3], v0 offset:872
	s_waitcnt lgkmcnt(0)
	v_add_co_u32_e32 v2, vcc, 1, v2
	v_addc_co_u32_e32 v3, vcc, 0, v3, vcc
	ds_write_b64 v0, v[2:3] offset:872
.LBB2_253:                              ;   in Loop: Header=BB2_229 Depth=1
	s_or_b64 exec, exec, s[18:19]
	v_mov_b32_e32 v8, v29
	v_mov_b32_e32 v9, v30
.LBB2_254:                              ;   in Loop: Header=BB2_229 Depth=1
	s_or_b64 exec, exec, s[56:57]
	s_and_saveexec_b64 s[18:19], s[10:11]
	s_cbranch_execz .LBB2_273
; %bb.255:                              ;   in Loop: Header=BB2_229 Depth=1
	s_and_saveexec_b64 s[56:57], s[28:29]
	s_xor_b64 s[56:57], exec, s[56:57]
	s_cbranch_execz .LBB2_270
; %bb.256:                              ;   in Loop: Header=BB2_229 Depth=1
	s_and_saveexec_b64 s[58:59], s[12:13]
	s_cbranch_execz .LBB2_269
; %bb.257:                              ;   in Loop: Header=BB2_229 Depth=1
	s_mov_b64 s[62:63], exec
	v_mbcnt_lo_u32_b32 v2, s62, 0
	v_mbcnt_hi_u32_b32 v2, s63, v2
	v_cmp_eq_u32_e32 vcc, 0, v2
	s_waitcnt vmcnt(0) lgkmcnt(0)
	buffer_wbinvl1_vol
	s_and_saveexec_b64 s[60:61], vcc
	s_cbranch_execz .LBB2_259
; %bb.258:                              ;   in Loop: Header=BB2_229 Depth=1
	s_bcnt1_i32_b64 s62, s[62:63]
	v_mov_b32_e32 v24, s62
	ds_add_u64 v0, v[24:25]
	s_trap 2
.LBB2_259:                              ;   in Loop: Header=BB2_229 Depth=1
	s_or_b64 exec, exec, s[60:61]
	s_trap 2
	ds_read_b64 v[2:3], v0
	s_waitcnt lgkmcnt(0)
	v_add_co_u32_e32 v10, vcc, v10, v48
	v_addc_co_u32_e32 v11, vcc, 0, v11, vcc
	v_cmp_lt_u64_e32 vcc, v[2:3], v[10:11]
	s_and_saveexec_b64 s[60:61], vcc
	s_cbranch_execz .LBB2_268
; %bb.260:                              ;   in Loop: Header=BB2_229 Depth=1
	s_mov_b32 s90, 0
	s_mov_b64 s[62:63], 0
                                        ; implicit-def: $sgpr72_sgpr73
                                        ; implicit-def: $sgpr74_sgpr75
	s_branch .LBB2_262
.LBB2_261:                              ;   in Loop: Header=BB2_262 Depth=2
	s_or_b64 exec, exec, s[78:79]
	s_and_b64 s[76:77], exec, s[88:89]
	s_or_b64 s[62:63], s[76:77], s[62:63]
	s_andn2_b64 s[72:73], s[72:73], exec
	s_and_b64 s[76:77], s[74:75], exec
	s_or_b64 s[72:73], s[72:73], s[76:77]
	s_andn2_b64 exec, exec, s[62:63]
	s_cbranch_execz .LBB2_266
.LBB2_262:                              ;   Parent Loop BB2_229 Depth=1
                                        ; =>  This Inner Loop Header: Depth=2
	s_add_i32 s90, s90, 1
	s_cmpk_lg_i32 s90, 0x2710
	s_cselect_b64 s[76:77], -1, 0
	s_and_b64 vcc, exec, s[76:77]
	s_cbranch_vccz .LBB2_264
; %bb.263:                              ;   in Loop: Header=BB2_262 Depth=2
	s_mov_b64 s[88:89], -1
	s_or_b64 s[74:75], s[74:75], exec
	s_and_saveexec_b64 s[78:79], s[76:77]
	s_cbranch_execz .LBB2_261
	s_branch .LBB2_265
.LBB2_264:                              ;   in Loop: Header=BB2_262 Depth=2
	s_trap 2
	ds_read_b64 v[2:3], v0
	s_andn2_b64 s[76:77], s[76:77], exec
	s_mov_b32 s90, 0
	s_waitcnt lgkmcnt(0)
	flat_load_dword v2, v[2:3] glc
	s_waitcnt vmcnt(0) lgkmcnt(0)
	buffer_wbinvl1_vol
	v_cmp_eq_u32_e32 vcc, 0, v2
	s_and_b64 s[78:79], vcc, exec
	s_or_b64 s[76:77], s[76:77], s[78:79]
	s_mov_b64 s[88:89], -1
	s_or_b64 s[74:75], s[74:75], exec
	s_and_saveexec_b64 s[78:79], s[76:77]
	s_cbranch_execz .LBB2_261
.LBB2_265:                              ;   in Loop: Header=BB2_262 Depth=2
	s_sleep 1
	s_trap 2
	ds_read_b64 v[2:3], v0
	s_waitcnt lgkmcnt(0)
	s_andn2_b64 s[74:75], s[74:75], exec
	v_cmp_ge_u64_e32 vcc, v[2:3], v[10:11]
	s_orn2_b64 s[88:89], vcc, exec
	s_branch .LBB2_261
.LBB2_266:                              ;   in Loop: Header=BB2_229 Depth=1
	s_or_b64 exec, exec, s[62:63]
	s_and_saveexec_b64 s[62:63], s[72:73]
	s_xor_b64 s[62:63], exec, s[62:63]
	s_cbranch_execz .LBB2_268
; %bb.267:                              ;   in Loop: Header=BB2_229 Depth=1
	v_mov_b32_e32 v2, 1
	ds_write_b32 v0, v2
	s_trap 2
.LBB2_268:                              ;   in Loop: Header=BB2_229 Depth=1
	s_or_b64 exec, exec, s[60:61]
	;;#ASMSTART
	s_wakeup
	;;#ASMEND
.LBB2_269:                              ;   in Loop: Header=BB2_229 Depth=1
	s_or_b64 exec, exec, s[58:59]
.LBB2_270:                              ;   in Loop: Header=BB2_229 Depth=1
	s_andn2_saveexec_b64 s[56:57], s[56:57]
	s_cbranch_execz .LBB2_272
; %bb.271:                              ;   in Loop: Header=BB2_229 Depth=1
	s_waitcnt vmcnt(0) lgkmcnt(0)
	buffer_wbinvl1_vol
	s_barrier
.LBB2_272:                              ;   in Loop: Header=BB2_229 Depth=1
	s_or_b64 exec, exec, s[56:57]
.LBB2_273:                              ;   in Loop: Header=BB2_229 Depth=1
	s_or_b64 exec, exec, s[18:19]
	s_trap 2
	ds_read_b32 v34, v0
	v_and_b32_e32 v2, 0x4000, v53
	v_cmp_ne_u32_e32 vcc, 0, v2
	s_and_b64 s[56:57], s[42:43], vcc
	s_and_saveexec_b64 s[18:19], s[56:57]
	s_cbranch_execz .LBB2_292
; %bb.274:                              ;   in Loop: Header=BB2_229 Depth=1
	s_and_saveexec_b64 s[56:57], s[28:29]
	s_xor_b64 s[56:57], exec, s[56:57]
	s_cbranch_execz .LBB2_289
; %bb.275:                              ;   in Loop: Header=BB2_229 Depth=1
	s_and_saveexec_b64 s[58:59], s[12:13]
	s_cbranch_execz .LBB2_288
; %bb.276:                              ;   in Loop: Header=BB2_229 Depth=1
	s_mov_b64 s[62:63], exec
	v_mbcnt_lo_u32_b32 v2, s62, 0
	v_mbcnt_hi_u32_b32 v2, s63, v2
	v_cmp_eq_u32_e32 vcc, 0, v2
	s_waitcnt vmcnt(0) lgkmcnt(0)
	buffer_wbinvl1_vol
	s_and_saveexec_b64 s[60:61], vcc
	s_cbranch_execz .LBB2_278
; %bb.277:                              ;   in Loop: Header=BB2_229 Depth=1
	s_bcnt1_i32_b64 s62, s[62:63]
	v_mov_b32_e32 v24, s62
	ds_add_u64 v0, v[24:25]
	s_trap 2
.LBB2_278:                              ;   in Loop: Header=BB2_229 Depth=1
	s_or_b64 exec, exec, s[60:61]
	s_trap 2
	ds_read_b64 v[2:3], v0
	s_waitcnt lgkmcnt(0)
	v_add_co_u32_e32 v10, vcc, v10, v48
	v_addc_co_u32_e32 v11, vcc, 0, v11, vcc
	v_cmp_lt_u64_e32 vcc, v[2:3], v[10:11]
	s_and_saveexec_b64 s[60:61], vcc
	s_cbranch_execz .LBB2_287
; %bb.279:                              ;   in Loop: Header=BB2_229 Depth=1
	s_mov_b32 s90, 0
	s_mov_b64 s[62:63], 0
                                        ; implicit-def: $sgpr72_sgpr73
                                        ; implicit-def: $sgpr74_sgpr75
	s_branch .LBB2_281
.LBB2_280:                              ;   in Loop: Header=BB2_281 Depth=2
	s_or_b64 exec, exec, s[78:79]
	s_and_b64 s[76:77], exec, s[88:89]
	s_or_b64 s[62:63], s[76:77], s[62:63]
	s_andn2_b64 s[72:73], s[72:73], exec
	s_and_b64 s[76:77], s[74:75], exec
	s_or_b64 s[72:73], s[72:73], s[76:77]
	s_andn2_b64 exec, exec, s[62:63]
	s_cbranch_execz .LBB2_285
.LBB2_281:                              ;   Parent Loop BB2_229 Depth=1
                                        ; =>  This Inner Loop Header: Depth=2
	s_add_i32 s90, s90, 1
	s_cmpk_lg_i32 s90, 0x2710
	s_cselect_b64 s[76:77], -1, 0
	s_and_b64 vcc, exec, s[76:77]
	s_cbranch_vccz .LBB2_283
; %bb.282:                              ;   in Loop: Header=BB2_281 Depth=2
	s_mov_b64 s[88:89], -1
	s_or_b64 s[74:75], s[74:75], exec
	s_and_saveexec_b64 s[78:79], s[76:77]
	s_cbranch_execz .LBB2_280
	s_branch .LBB2_284
.LBB2_283:                              ;   in Loop: Header=BB2_281 Depth=2
	s_trap 2
	ds_read_b64 v[2:3], v0
	s_andn2_b64 s[76:77], s[76:77], exec
	s_mov_b32 s90, 0
	s_waitcnt lgkmcnt(0)
	flat_load_dword v2, v[2:3] glc
	s_waitcnt vmcnt(0) lgkmcnt(0)
	buffer_wbinvl1_vol
	v_cmp_eq_u32_e32 vcc, 0, v2
	s_and_b64 s[78:79], vcc, exec
	s_or_b64 s[76:77], s[76:77], s[78:79]
	s_mov_b64 s[88:89], -1
	s_or_b64 s[74:75], s[74:75], exec
	s_and_saveexec_b64 s[78:79], s[76:77]
	s_cbranch_execz .LBB2_280
.LBB2_284:                              ;   in Loop: Header=BB2_281 Depth=2
	s_sleep 1
	s_trap 2
	ds_read_b64 v[2:3], v0
	s_waitcnt lgkmcnt(0)
	s_andn2_b64 s[74:75], s[74:75], exec
	v_cmp_ge_u64_e32 vcc, v[2:3], v[10:11]
	s_orn2_b64 s[88:89], vcc, exec
	s_branch .LBB2_280
.LBB2_285:                              ;   in Loop: Header=BB2_229 Depth=1
	s_or_b64 exec, exec, s[62:63]
	s_and_saveexec_b64 s[62:63], s[72:73]
	s_xor_b64 s[62:63], exec, s[62:63]
	s_cbranch_execz .LBB2_287
; %bb.286:                              ;   in Loop: Header=BB2_229 Depth=1
	v_mov_b32_e32 v2, 1
	ds_write_b32 v0, v2
	s_trap 2
.LBB2_287:                              ;   in Loop: Header=BB2_229 Depth=1
	s_or_b64 exec, exec, s[60:61]
	;;#ASMSTART
	s_wakeup
	;;#ASMEND
.LBB2_288:                              ;   in Loop: Header=BB2_229 Depth=1
	s_or_b64 exec, exec, s[58:59]
.LBB2_289:                              ;   in Loop: Header=BB2_229 Depth=1
	s_andn2_saveexec_b64 s[56:57], s[56:57]
	s_cbranch_execz .LBB2_291
; %bb.290:                              ;   in Loop: Header=BB2_229 Depth=1
	s_waitcnt vmcnt(0) lgkmcnt(0)
	buffer_wbinvl1_vol
	s_barrier
.LBB2_291:                              ;   in Loop: Header=BB2_229 Depth=1
	s_or_b64 exec, exec, s[56:57]
.LBB2_292:                              ;   in Loop: Header=BB2_229 Depth=1
	s_or_b64 exec, exec, s[18:19]
	s_trap 2
	ds_read_b64 v[29:30], v0
	v_min_u32_e32 v44, v44, v28
	s_waitcnt lgkmcnt(0)
	v_cmp_eq_u64_e32 vcc, 0, v[29:30]
	s_cbranch_vccnz .LBB2_300
; %bb.293:                              ;   in Loop: Header=BB2_229 Depth=1
	s_trap 2
	ds_read_b64 v[32:33], v0
	s_waitcnt lgkmcnt(0)
	v_cmp_eq_u64_e32 vcc, 0, v[32:33]
	s_cbranch_vccnz .LBB2_300
; %bb.294:                              ;   in Loop: Header=BB2_229 Depth=1
	s_mov_b64 s[18:19], -1
	s_and_saveexec_b64 s[56:57], s[14:15]
	s_cbranch_execz .LBB2_296
; %bb.295:                              ;   in Loop: Header=BB2_229 Depth=1
	ds_read_b32 v2, v0 offset:720
	s_waitcnt lgkmcnt(0)
	v_and_b32_e32 v2, 15, v2
	v_cmp_eq_u32_e32 vcc, 0, v2
	s_orn2_b64 s[18:19], vcc, exec
.LBB2_296:                              ;   in Loop: Header=BB2_229 Depth=1
	s_or_b64 exec, exec, s[56:57]
	s_and_saveexec_b64 s[56:57], s[16:17]
	s_cbranch_execz .LBB2_298
; %bb.297:                              ;   in Loop: Header=BB2_229 Depth=1
	ds_read_b32 v2, v0 offset:784
	s_waitcnt lgkmcnt(0)
	v_and_b32_e32 v2, 15, v2
	v_cmp_eq_u32_e32 vcc, 0, v2
	s_and_b64 s[58:59], s[18:19], vcc
	s_andn2_b64 s[18:19], s[18:19], exec
	s_and_b64 s[58:59], s[58:59], exec
	s_or_b64 s[18:19], s[18:19], s[58:59]
.LBB2_298:                              ;   in Loop: Header=BB2_229 Depth=1
	s_or_b64 exec, exec, s[56:57]
	v_cmp_eq_u32_e32 vcc, 0, v34
	s_xor_b64 s[18:19], s[18:19], -1
	v_cndmask_b32_e32 v24, 0, v44, vcc
	v_cndmask_b32_e64 v2, 0, 1, s[18:19]
	v_lshlrev_b32_e32 v45, 1, v24
	s_mov_b64 s[58:59], -1
	v_cmp_ne_u32_e32 vcc, 0, v2
	v_mov_b32_e32 v46, 0
	s_cbranch_vccz .LBB2_301
; %bb.299:                              ;   in Loop: Header=BB2_229 Depth=1
	v_mov_b32_e32 v47, v0
	s_and_saveexec_b64 s[18:19], s[58:59]
	s_cbranch_execnz .LBB2_312
	s_branch .LBB2_320
.LBB2_300:                              ;   in Loop: Header=BB2_229 Depth=1
	s_mov_b64 s[18:19], 0
	s_and_saveexec_b64 s[56:57], s[10:11]
	s_cbranch_execnz .LBB2_321
	s_branch .LBB2_339
.LBB2_301:                              ;   in Loop: Header=BB2_229 Depth=1
	v_lshrrev_b32_e32 v3, 9, v24
	v_lshlrev_b32_e32 v57, 10, v3
	v_sub_u32_e32 v59, v45, v57
	v_cmp_lt_i32_e32 vcc, 15, v59
	v_sub_u32_e32 v2, v45, v43
	v_addc_co_u32_e64 v58, s[18:19], v3, v62, vcc
	v_cmp_lt_i32_e64 s[18:19], 15, v2
	s_and_saveexec_b64 s[56:57], s[18:19]
	s_cbranch_execz .LBB2_305
; %bb.302:                              ;   in Loop: Header=BB2_229 Depth=1
	s_trap 2
	ds_read_b64 v[14:15], v0
	v_add_co_u32_e64 v34, s[18:19], v29, v43
	v_addc_co_u32_e64 v35, s[18:19], v30, v60, s[18:19]
	s_waitcnt lgkmcnt(0)
	v_add_co_u32_e64 v36, s[18:19], v14, v43
	v_addc_co_u32_e64 v37, s[18:19], v15, v60, s[18:19]
	v_add_co_u32_e64 v38, s[18:19], v32, v43
	v_addc_co_u32_e64 v39, s[18:19], v33, v60, s[18:19]
	s_mov_b64 s[58:59], 0
.LBB2_303:                              ;   Parent Loop BB2_229 Depth=1
                                        ; =>  This Inner Loop Header: Depth=2
	global_load_dwordx4 v[14:17], v[34:35], off glc slc
	global_load_dwordx4 v[49:52], v[36:37], off glc slc
	v_add_co_u32_e64 v34, s[18:19], v34, v40
	v_addc_co_u32_e64 v35, s[18:19], 0, v35, s[18:19]
	v_add_co_u32_e64 v36, s[18:19], v36, v40
	v_addc_co_u32_e64 v37, s[18:19], 0, v37, s[18:19]
	v_sub_u32_e32 v2, v2, v40
	v_cmp_gt_i32_e64 s[18:19], 16, v2
	s_or_b64 s[58:59], s[18:19], s[58:59]
	v_sub_u32_e32 v58, v58, v48
	s_waitcnt vmcnt(0)
	v_add_f16_e32 v3, v14, v49
	v_add_f16_sdwa v14, v14, v49 dst_sel:WORD_1 dst_unused:UNUSED_PAD src0_sel:WORD_1 src1_sel:WORD_1
	v_add_f16_e32 v49, v15, v50
	v_add_f16_sdwa v15, v15, v50 dst_sel:WORD_1 dst_unused:UNUSED_PAD src0_sel:WORD_1 src1_sel:WORD_1
	;; [unrolled: 2-line block ×4, first 2 shown]
	v_or_b32_e32 v15, v15, v49
	v_or_b32_e32 v14, v14, v3
	;; [unrolled: 1-line block ×4, first 2 shown]
	global_store_dwordx4 v[38:39], v[14:17], off glc slc
	v_add_co_u32_e64 v38, s[18:19], v38, v40
	v_addc_co_u32_e64 v39, s[18:19], 0, v39, s[18:19]
	s_andn2_b64 exec, exec, s[58:59]
	s_cbranch_execnz .LBB2_303
; %bb.304:                              ;   in Loop: Header=BB2_229 Depth=1
	s_or_b64 exec, exec, s[58:59]
.LBB2_305:                              ;   in Loop: Header=BB2_229 Depth=1
	s_or_b64 exec, exec, s[56:57]
	v_and_b32_e32 v2, 14, v45
	v_cndmask_b32_e32 v56, v59, v2, vcc
	v_mov_b32_e32 v46, 0
	v_cmp_ne_u32_e64 s[18:19], 0, v56
	s_mov_b64 s[58:59], 0
                                        ; implicit-def: $vgpr45
                                        ; implicit-def: $vgpr47
	s_and_saveexec_b64 s[56:57], s[18:19]
	s_cbranch_execz .LBB2_311
; %bb.306:                              ;   in Loop: Header=BB2_229 Depth=1
	v_sub_u32_e32 v2, v59, v2
	v_cndmask_b32_e32 v2, 0, v2, vcc
	v_cmp_lt_i32_e32 vcc, 0, v58
	v_add_u32_e32 v45, v2, v57
	v_cndmask_b32_e32 v2, 0, v48, vcc
	v_sub_u32_e32 v2, v2, v58
	v_lshl_add_u32 v2, v2, 6, v31
	v_ashrrev_i32_e32 v3, 31, v2
	v_lshrrev_b32_e32 v3, 26, v3
	v_add_u32_e32 v3, v2, v3
	v_ashrrev_i32_e32 v14, 6, v3
	v_and_b32_e32 v3, 0xffffffc0, v3
	v_sub_u32_e32 v47, v2, v3
	v_lshlrev_b32_e32 v2, 4, v47
	v_lshl_add_u32 v34, v14, 10, v2
	v_ashrrev_i32_e32 v2, 31, v56
	v_lshrrev_b32_e32 v2, 22, v2
	v_add_u32_e32 v2, v56, v2
	v_ashrrev_i32_e32 v15, 10, v2
	v_and_b32_e32 v2, 0xfffffc00, v2
	v_sub_u32_e32 v3, v56, v2
	v_cmp_lt_i32_e32 vcc, 15, v3
	v_sub_u32_e32 v46, v56, v34
	v_addc_co_u32_e64 v15, s[18:19], 0, v15, vcc
	v_sub_u32_e32 v57, v15, v14
	v_cmp_lt_i32_e64 s[18:19], 15, v46
	s_and_saveexec_b64 s[58:59], s[18:19]
	s_cbranch_execz .LBB2_310
; %bb.307:                              ;   in Loop: Header=BB2_229 Depth=1
	s_trap 2
	ds_read_b64 v[14:15], v0
	v_add_u32_e32 v16, v34, v45
	v_ashrrev_i32_e32 v17, 31, v16
	v_add_co_u32_e64 v34, s[18:19], v16, v29
	v_addc_co_u32_e64 v35, s[18:19], v17, v30, s[18:19]
	s_waitcnt lgkmcnt(0)
	v_add_co_u32_e64 v36, s[18:19], v14, v16
	v_addc_co_u32_e64 v37, s[18:19], v15, v17, s[18:19]
	v_add_co_u32_e64 v38, s[18:19], v16, v32
	v_addc_co_u32_e64 v39, s[18:19], v17, v33, s[18:19]
	s_mov_b64 s[60:61], 0
.LBB2_308:                              ;   Parent Loop BB2_229 Depth=1
                                        ; =>  This Inner Loop Header: Depth=2
	global_load_dwordx4 v[14:17], v[34:35], off glc slc
	global_load_dwordx4 v[49:52], v[36:37], off glc slc
	v_add_co_u32_e64 v34, s[18:19], v34, v40
	v_addc_co_u32_e64 v35, s[18:19], 0, v35, s[18:19]
	v_add_co_u32_e64 v36, s[18:19], v36, v40
	v_addc_co_u32_e64 v37, s[18:19], 0, v37, s[18:19]
	v_sub_u32_e32 v46, v46, v40
	v_cmp_gt_i32_e64 s[18:19], 16, v46
	s_or_b64 s[60:61], s[18:19], s[60:61]
	v_sub_u32_e32 v57, v57, v48
	s_waitcnt vmcnt(0)
	v_add_f16_e32 v58, v14, v49
	v_add_f16_sdwa v14, v14, v49 dst_sel:WORD_1 dst_unused:UNUSED_PAD src0_sel:WORD_1 src1_sel:WORD_1
	v_add_f16_e32 v49, v15, v50
	v_add_f16_sdwa v15, v15, v50 dst_sel:WORD_1 dst_unused:UNUSED_PAD src0_sel:WORD_1 src1_sel:WORD_1
	;; [unrolled: 2-line block ×4, first 2 shown]
	v_or_b32_e32 v15, v15, v49
	v_or_b32_e32 v14, v14, v58
	;; [unrolled: 1-line block ×4, first 2 shown]
	global_store_dwordx4 v[38:39], v[14:17], off glc slc
	v_add_co_u32_e64 v38, s[18:19], v38, v40
	v_addc_co_u32_e64 v39, s[18:19], 0, v39, s[18:19]
	s_andn2_b64 exec, exec, s[60:61]
	s_cbranch_execnz .LBB2_308
; %bb.309:                              ;   in Loop: Header=BB2_229 Depth=1
	s_or_b64 exec, exec, s[60:61]
.LBB2_310:                              ;   in Loop: Header=BB2_229 Depth=1
	s_or_b64 exec, exec, s[58:59]
	v_and_b32_e32 v14, 14, v56
	v_sub_u32_e32 v15, v3, v14
	v_cndmask_b32_e32 v15, 0, v15, vcc
	v_add3_u32 v46, v2, v45, v15
	v_cndmask_b32_e32 v45, v3, v14, vcc
	v_cmp_lt_i32_e32 vcc, 0, v57
	v_cndmask_b32_e32 v2, 0, v48, vcc
	v_sub_u32_e32 v2, v2, v57
	v_cmp_ne_u32_e32 vcc, 0, v45
	v_lshl_add_u32 v47, v2, 6, v47
	s_and_b64 s[58:59], vcc, exec
.LBB2_311:                              ;   in Loop: Header=BB2_229 Depth=1
	s_or_b64 exec, exec, s[56:57]
	s_and_saveexec_b64 s[18:19], s[58:59]
	s_cbranch_execz .LBB2_320
.LBB2_312:                              ;   in Loop: Header=BB2_229 Depth=1
	v_ashrrev_i32_e32 v2, 31, v47
	v_ashrrev_i32_e32 v3, 31, v45
	v_lshrrev_b32_e32 v2, 26, v2
	v_lshrrev_b32_e32 v3, 23, v3
	v_add_u32_e32 v34, v47, v2
	v_add_u32_e32 v3, v45, v3
	v_ashrrev_i32_e32 v2, 6, v34
	v_ashrrev_i32_e32 v56, 9, v3
	v_sub_u32_e32 v3, v56, v2
	v_cmp_lt_i32_e32 vcc, 0, v3
	s_and_saveexec_b64 s[56:57], vcc
	s_cbranch_execz .LBB2_316
; %bb.313:                              ;   in Loop: Header=BB2_229 Depth=1
	v_and_b32_e32 v14, 0x7fffffc0, v34
	v_sub_u32_e32 v14, v47, v14
	v_lshlrev_b32_e32 v14, 1, v14
	v_lshlrev_b32_e32 v15, 9, v2
	v_add3_u32 v16, v14, v46, v15
	s_trap 2
	ds_read_b64 v[14:15], v0
	v_ashrrev_i32_e32 v17, 31, v16
	v_add_co_u32_e32 v34, vcc, v16, v29
	v_addc_co_u32_e32 v35, vcc, v17, v30, vcc
	s_waitcnt lgkmcnt(0)
	v_add_co_u32_e32 v36, vcc, v14, v16
	v_addc_co_u32_e32 v37, vcc, v15, v17, vcc
	v_add_co_u32_e32 v38, vcc, v16, v32
	v_addc_co_u32_e32 v39, vcc, v17, v33, vcc
	s_mov_b64 s[58:59], 0
.LBB2_314:                              ;   Parent Loop BB2_229 Depth=1
                                        ; =>  This Inner Loop Header: Depth=2
	flat_load_ushort v14, v[34:35] glc slc
	flat_load_ushort v15, v[34:35] offset:128 glc slc
	flat_load_ushort v16, v[34:35] offset:256 glc slc
	;; [unrolled: 1-line block ×3, first 2 shown]
	flat_load_ushort v49, v[36:37] glc slc
	flat_load_ushort v50, v[36:37] offset:128 glc slc
	flat_load_ushort v51, v[36:37] offset:256 glc slc
	flat_load_ushort v52, v[36:37] offset:384 glc slc
	v_add_co_u32_e32 v34, vcc, v34, v41
	v_addc_co_u32_e32 v35, vcc, 0, v35, vcc
	v_add_co_u32_e32 v36, vcc, v36, v41
	v_addc_co_u32_e32 v37, vcc, 0, v37, vcc
	v_sub_u32_e32 v3, v3, v48
	v_cmp_gt_i32_e32 vcc, 1, v3
	s_or_b64 s[58:59], vcc, s[58:59]
	s_waitcnt vmcnt(0) lgkmcnt(0)
	v_add_f16_e32 v14, v14, v49
	v_add_f16_e32 v15, v15, v50
	;; [unrolled: 1-line block ×4, first 2 shown]
	flat_store_short v[38:39], v14 glc slc
	flat_store_short v[38:39], v15 offset:128 glc slc
	flat_store_short v[38:39], v16 offset:256 glc slc
	flat_store_short v[38:39], v17 offset:384 glc slc
	v_add_co_u32_e32 v38, vcc, v38, v41
	v_addc_co_u32_e32 v39, vcc, 0, v39, vcc
	s_andn2_b64 exec, exec, s[58:59]
	s_cbranch_execnz .LBB2_314
; %bb.315:                              ;   in Loop: Header=BB2_229 Depth=1
	s_or_b64 exec, exec, s[58:59]
.LBB2_316:                              ;   in Loop: Header=BB2_229 Depth=1
	s_or_b64 exec, exec, s[56:57]
	v_lshlrev_b32_e32 v34, 9, v56
	v_cmp_ne_u32_e32 vcc, v45, v34
	s_and_b64 exec, exec, vcc
	s_cbranch_execz .LBB2_320
; %bb.317:                              ;   in Loop: Header=BB2_229 Depth=1
	v_lshlrev_b32_e32 v2, 6, v2
	v_sub_u32_e32 v2, v47, v2
	v_lshlrev_b32_e32 v3, 6, v3
	v_sub_u32_e32 v2, v2, v3
	v_ashrrev_i32_e32 v3, 31, v2
	v_lshrrev_b32_e32 v3, 26, v3
	v_add_u32_e32 v3, v2, v3
	v_and_b32_e32 v14, 0x7fffffc0, v3
	v_sub_u32_e32 v2, v2, v14
	v_lshlrev_b32_e32 v3, 1, v3
	v_and_b32_e32 v3, 0xffffff80, v3
	v_lshlrev_b32_e32 v2, 1, v2
	v_add3_u32 v3, v3, v2, v34
	v_sub_u32_e32 v2, v45, v3
	v_cmp_lt_i32_e32 vcc, 1, v2
	s_and_b64 exec, exec, vcc
	s_cbranch_execz .LBB2_320
; %bb.318:                              ;   in Loop: Header=BB2_229 Depth=1
	s_trap 2
	ds_read_b64 v[14:15], v0
	v_add_u32_e32 v3, v3, v46
	v_ashrrev_i32_e32 v16, 31, v3
	v_add_co_u32_e32 v29, vcc, v3, v29
	v_addc_co_u32_e32 v30, vcc, v16, v30, vcc
	s_waitcnt lgkmcnt(0)
	v_add_co_u32_e32 v34, vcc, v14, v3
	v_addc_co_u32_e32 v35, vcc, v15, v16, vcc
	v_add_co_u32_e32 v32, vcc, v3, v32
	v_addc_co_u32_e32 v33, vcc, v16, v33, vcc
	s_mov_b64 s[56:57], 0
.LBB2_319:                              ;   Parent Loop BB2_229 Depth=1
                                        ; =>  This Inner Loop Header: Depth=2
	flat_load_ushort v3, v[29:30] glc slc
	flat_load_ushort v14, v[34:35] glc slc
	v_add_co_u32_e32 v29, vcc, v29, v42
	v_addc_co_u32_e32 v30, vcc, 0, v30, vcc
	v_add_co_u32_e32 v34, vcc, v34, v42
	v_addc_co_u32_e32 v35, vcc, 0, v35, vcc
	v_sub_u32_e32 v2, v2, v42
	v_cmp_gt_i32_e32 vcc, 2, v2
	s_or_b64 s[56:57], vcc, s[56:57]
	s_waitcnt vmcnt(0) lgkmcnt(0)
	v_add_f16_e32 v3, v3, v14
	flat_store_short v[32:33], v3 glc slc
	v_add_co_u32_e32 v32, vcc, v32, v42
	v_addc_co_u32_e32 v33, vcc, 0, v33, vcc
	s_andn2_b64 exec, exec, s[56:57]
	s_cbranch_execnz .LBB2_319
.LBB2_320:                              ;   in Loop: Header=BB2_229 Depth=1
	s_or_b64 exec, exec, s[18:19]
	v_cmp_ne_u32_e64 s[18:19], 0, v24
	s_and_saveexec_b64 s[56:57], s[10:11]
	s_cbranch_execz .LBB2_339
.LBB2_321:                              ;   in Loop: Header=BB2_229 Depth=1
	s_and_saveexec_b64 s[58:59], s[28:29]
	s_xor_b64 s[58:59], exec, s[58:59]
	s_cbranch_execz .LBB2_336
; %bb.322:                              ;   in Loop: Header=BB2_229 Depth=1
	s_and_saveexec_b64 s[60:61], s[12:13]
	s_cbranch_execz .LBB2_335
; %bb.323:                              ;   in Loop: Header=BB2_229 Depth=1
	s_mov_b64 s[72:73], exec
	v_mbcnt_lo_u32_b32 v2, s72, 0
	v_mbcnt_hi_u32_b32 v2, s73, v2
	v_cmp_eq_u32_e32 vcc, 0, v2
	s_waitcnt vmcnt(0) lgkmcnt(0)
	buffer_wbinvl1_vol
	s_and_saveexec_b64 s[62:63], vcc
	s_cbranch_execz .LBB2_325
; %bb.324:                              ;   in Loop: Header=BB2_229 Depth=1
	s_bcnt1_i32_b64 s72, s[72:73]
	v_mov_b32_e32 v24, s72
	ds_add_u64 v0, v[24:25]
	s_trap 2
.LBB2_325:                              ;   in Loop: Header=BB2_229 Depth=1
	s_or_b64 exec, exec, s[62:63]
	s_trap 2
	ds_read_b64 v[2:3], v0
	s_waitcnt lgkmcnt(0)
	v_add_co_u32_e32 v10, vcc, v10, v48
	v_addc_co_u32_e32 v11, vcc, 0, v11, vcc
	v_cmp_lt_u64_e32 vcc, v[2:3], v[10:11]
	s_and_saveexec_b64 s[62:63], vcc
	s_cbranch_execz .LBB2_334
; %bb.326:                              ;   in Loop: Header=BB2_229 Depth=1
	s_mov_b32 s92, 0
	s_mov_b64 s[72:73], 0
                                        ; implicit-def: $sgpr74_sgpr75
                                        ; implicit-def: $sgpr76_sgpr77
	s_branch .LBB2_328
.LBB2_327:                              ;   in Loop: Header=BB2_328 Depth=2
	s_or_b64 exec, exec, s[88:89]
	s_and_b64 s[78:79], exec, s[90:91]
	s_or_b64 s[72:73], s[78:79], s[72:73]
	s_andn2_b64 s[74:75], s[74:75], exec
	s_and_b64 s[78:79], s[76:77], exec
	s_or_b64 s[74:75], s[74:75], s[78:79]
	s_andn2_b64 exec, exec, s[72:73]
	s_cbranch_execz .LBB2_332
.LBB2_328:                              ;   Parent Loop BB2_229 Depth=1
                                        ; =>  This Inner Loop Header: Depth=2
	s_add_i32 s92, s92, 1
	s_cmpk_lg_i32 s92, 0x2710
	s_cselect_b64 s[78:79], -1, 0
	s_and_b64 vcc, exec, s[78:79]
	s_cbranch_vccz .LBB2_330
; %bb.329:                              ;   in Loop: Header=BB2_328 Depth=2
	s_mov_b64 s[90:91], -1
	s_or_b64 s[76:77], s[76:77], exec
	s_and_saveexec_b64 s[88:89], s[78:79]
	s_cbranch_execz .LBB2_327
	s_branch .LBB2_331
.LBB2_330:                              ;   in Loop: Header=BB2_328 Depth=2
	s_trap 2
	ds_read_b64 v[2:3], v0
	s_andn2_b64 s[78:79], s[78:79], exec
	s_mov_b32 s92, 0
	s_waitcnt lgkmcnt(0)
	flat_load_dword v2, v[2:3] glc
	s_waitcnt vmcnt(0) lgkmcnt(0)
	buffer_wbinvl1_vol
	v_cmp_eq_u32_e32 vcc, 0, v2
	s_and_b64 s[88:89], vcc, exec
	s_or_b64 s[78:79], s[78:79], s[88:89]
	s_mov_b64 s[90:91], -1
	s_or_b64 s[76:77], s[76:77], exec
	s_and_saveexec_b64 s[88:89], s[78:79]
	s_cbranch_execz .LBB2_327
.LBB2_331:                              ;   in Loop: Header=BB2_328 Depth=2
	s_sleep 1
	s_trap 2
	ds_read_b64 v[2:3], v0
	s_waitcnt lgkmcnt(0)
	s_andn2_b64 s[76:77], s[76:77], exec
	v_cmp_ge_u64_e32 vcc, v[2:3], v[10:11]
	s_orn2_b64 s[90:91], vcc, exec
	s_branch .LBB2_327
.LBB2_332:                              ;   in Loop: Header=BB2_229 Depth=1
	s_or_b64 exec, exec, s[72:73]
	s_and_saveexec_b64 s[72:73], s[74:75]
	s_xor_b64 s[72:73], exec, s[72:73]
	s_cbranch_execz .LBB2_334
; %bb.333:                              ;   in Loop: Header=BB2_229 Depth=1
	v_mov_b32_e32 v2, 1
	ds_write_b32 v0, v2
	s_trap 2
.LBB2_334:                              ;   in Loop: Header=BB2_229 Depth=1
	s_or_b64 exec, exec, s[62:63]
	;;#ASMSTART
	s_wakeup
	;;#ASMEND
.LBB2_335:                              ;   in Loop: Header=BB2_229 Depth=1
	s_or_b64 exec, exec, s[60:61]
.LBB2_336:                              ;   in Loop: Header=BB2_229 Depth=1
	s_andn2_saveexec_b64 s[58:59], s[58:59]
	s_cbranch_execz .LBB2_338
; %bb.337:                              ;   in Loop: Header=BB2_229 Depth=1
	s_waitcnt vmcnt(0) lgkmcnt(0)
	buffer_wbinvl1_vol
	s_barrier
.LBB2_338:                              ;   in Loop: Header=BB2_229 Depth=1
	s_or_b64 exec, exec, s[58:59]
.LBB2_339:                              ;   in Loop: Header=BB2_229 Depth=1
	s_or_b64 exec, exec, s[56:57]
	v_and_b32_e32 v2, 16, v53
	v_cmp_ne_u32_e32 vcc, 0, v2
	s_and_b64 s[56:57], vcc, s[18:19]
	s_and_saveexec_b64 s[18:19], s[56:57]
	s_cbranch_execz .LBB2_341
; %bb.340:                              ;   in Loop: Header=BB2_229 Depth=1
	s_waitcnt vmcnt(0) lgkmcnt(0)
	buffer_wbinvl1_vol
.LBB2_341:                              ;   in Loop: Header=BB2_229 Depth=1
	s_or_b64 exec, exec, s[18:19]
	v_and_b32_e32 v2, 32, v53
	v_cmp_ne_u32_e32 vcc, 0, v2
	s_and_saveexec_b64 s[18:19], vcc
	s_cbranch_execz .LBB2_343
; %bb.342:                              ;   in Loop: Header=BB2_229 Depth=1
	v_add_co_u32_e32 v8, vcc, 1, v8
	v_addc_co_u32_e32 v9, vcc, 0, v9, vcc
	flat_store_dwordx2 v[18:19], v[8:9]
.LBB2_343:                              ;   in Loop: Header=BB2_229 Depth=1
	s_or_b64 exec, exec, s[18:19]
	v_mov_b32_e32 v34, v44
.LBB2_344:                              ;   in Loop: Header=BB2_229 Depth=1
	s_or_b64 exec, exec, s[46:47]
	s_and_saveexec_b64 s[46:47], s[44:45]
	s_cbranch_execz .LBB2_228
; %bb.345:                              ;   in Loop: Header=BB2_229 Depth=1
	v_and_b32_e32 v2, 4, v53
	v_cmp_ne_u32_e32 vcc, 0, v2
	s_and_saveexec_b64 s[44:45], vcc
	s_cbranch_execz .LBB2_367
; %bb.346:                              ;   in Loop: Header=BB2_229 Depth=1
	v_add_co_u32_e32 v29, vcc, 1, v8
	v_addc_co_u32_e32 v30, vcc, 0, v9, vcc
	s_waitcnt vmcnt(0)
	v_cmp_lt_u64_e32 vcc, v[22:23], v[29:30]
	s_and_saveexec_b64 s[56:57], vcc
	s_cbranch_execz .LBB2_358
; %bb.347:                              ;   in Loop: Header=BB2_229 Depth=1
	v_and_b32_e32 v2, 64, v53
	s_mov_b32 s92, 0
	v_cmp_eq_u32_e32 vcc, 0, v2
	s_mov_b64 s[58:59], 0
                                        ; implicit-def: $sgpr60_sgpr61
                                        ; implicit-def: $sgpr62_sgpr63
                                        ; implicit-def: $sgpr72_sgpr73
	s_branch .LBB2_351
.LBB2_348:                              ;   in Loop: Header=BB2_351 Depth=2
	s_waitcnt vmcnt(0) lgkmcnt(0)
	v_cmp_ge_u64_e64 s[18:19], v[22:23], v[29:30]
	s_or_b64 s[78:79], s[78:79], exec
	s_orn2_b64 s[76:77], s[18:19], exec
.LBB2_349:                              ;   in Loop: Header=BB2_351 Depth=2
	s_or_b64 exec, exec, s[90:91]
	s_andn2_b64 s[18:19], s[72:73], exec
	s_and_b64 s[72:73], s[78:79], exec
	s_or_b64 s[72:73], s[18:19], s[72:73]
	s_andn2_b64 s[18:19], s[62:63], exec
	s_and_b64 s[62:63], s[76:77], exec
	s_or_b64 s[62:63], s[18:19], s[62:63]
.LBB2_350:                              ;   in Loop: Header=BB2_351 Depth=2
	s_or_b64 exec, exec, s[74:75]
	s_and_b64 s[18:19], exec, s[62:63]
	s_or_b64 s[58:59], s[18:19], s[58:59]
	s_andn2_b64 s[18:19], s[60:61], exec
	s_and_b64 s[60:61], s[72:73], exec
	s_or_b64 s[60:61], s[18:19], s[60:61]
	s_andn2_b64 exec, exec, s[58:59]
	s_cbranch_execz .LBB2_355
.LBB2_351:                              ;   Parent Loop BB2_229 Depth=1
                                        ; =>  This Inner Loop Header: Depth=2
	s_sleep 1
	s_waitcnt vmcnt(0) lgkmcnt(0)
	flat_load_dwordx2 v[22:23], v[18:19] glc
	s_or_b64 s[72:73], s[72:73], exec
	s_or_b64 s[62:63], s[62:63], exec
                                        ; implicit-def: $vgpr2
	s_and_saveexec_b64 s[74:75], vcc
	s_cbranch_execz .LBB2_350
; %bb.352:                              ;   in Loop: Header=BB2_351 Depth=2
	s_cmpk_lt_i32 s92, 0x270f
	s_cselect_b64 s[88:89], -1, 0
	s_cmpk_gt_i32 s92, 0x270e
	s_mov_b64 s[76:77], -1
	s_cbranch_scc0 .LBB2_354
; %bb.353:                              ;   in Loop: Header=BB2_351 Depth=2
	s_trap 2
	ds_read_b64 v[2:3], v0
	s_andn2_b64 s[88:89], s[88:89], exec
	s_mov_b32 s92, 0
	s_mov_b64 s[78:79], 0
	s_waitcnt vmcnt(0) lgkmcnt(0)
	flat_load_dword v2, v[2:3] glc
	s_waitcnt vmcnt(0) lgkmcnt(0)
	buffer_wbinvl1_vol
	v_cmp_eq_u32_e64 s[18:19], 0, v2
	s_and_b64 s[18:19], s[18:19], exec
	s_or_b64 s[88:89], s[88:89], s[18:19]
	s_and_saveexec_b64 s[90:91], s[88:89]
	s_cbranch_execz .LBB2_349
	s_branch .LBB2_348
.LBB2_354:                              ;   in Loop: Header=BB2_351 Depth=2
	s_add_i32 s92, s92, 1
	s_mov_b64 s[78:79], -1
                                        ; implicit-def: $vgpr2
	s_and_saveexec_b64 s[90:91], s[88:89]
	s_cbranch_execz .LBB2_349
	s_branch .LBB2_348
.LBB2_355:                              ;   in Loop: Header=BB2_229 Depth=1
	s_or_b64 exec, exec, s[58:59]
	s_xor_b64 s[18:19], s[60:61], -1
	s_and_saveexec_b64 s[58:59], s[18:19]
	s_xor_b64 s[18:19], exec, s[58:59]
	s_cbranch_execz .LBB2_357
; %bb.356:                              ;   in Loop: Header=BB2_229 Depth=1
	v_or_b32_e32 v53, 64, v53
	s_waitcnt lgkmcnt(0)
	ds_write_b32 v0, v2
	s_trap 2
.LBB2_357:                              ;   in Loop: Header=BB2_229 Depth=1
	s_or_b64 exec, exec, s[18:19]
.LBB2_358:                              ;   in Loop: Header=BB2_229 Depth=1
	s_or_b64 exec, exec, s[56:57]
	v_and_b32_e32 v2, 0x100, v53
	v_cmp_ne_u32_e32 vcc, 0, v2
	v_and_b32_e32 v2, 7, v8
	s_mov_b64 s[18:19], -1
	;;#ASMSTART
	s_wakeup
	;;#ASMEND
                                        ; implicit-def: $vgpr8_vgpr9
	s_and_saveexec_b64 s[56:57], vcc
	s_cbranch_execz .LBB2_362
; %bb.359:                              ;   in Loop: Header=BB2_229 Depth=1
	v_mad_u64_u32 v[32:33], s[18:19], v2, 24, v[6:7]
                                        ; implicit-def: $vgpr8_vgpr9
	flat_load_dword v3, v[32:33]
	s_waitcnt vmcnt(0) lgkmcnt(0)
	v_cmp_ne_u32_e32 vcc, 1, v3
	v_cmp_eq_u32_e64 s[18:19], 1, v3
	s_and_saveexec_b64 s[58:59], s[18:19]
	s_cbranch_execz .LBB2_361
; %bb.360:                              ;   in Loop: Header=BB2_229 Depth=1
	flat_load_dword v8, v[32:33] offset:4 glc
	s_waitcnt vmcnt(0) lgkmcnt(0)
	v_ashrrev_i32_e32 v9, 31, v8
	v_lshrrev_b64 v[8:9], 1, v[8:9]
.LBB2_361:                              ;   in Loop: Header=BB2_229 Depth=1
	s_or_b64 exec, exec, s[58:59]
	s_orn2_b64 s[18:19], vcc, exec
.LBB2_362:                              ;   in Loop: Header=BB2_229 Depth=1
	s_or_b64 exec, exec, s[56:57]
	s_and_saveexec_b64 s[56:57], s[18:19]
; %bb.363:                              ;   in Loop: Header=BB2_229 Depth=1
	v_mad_i64_i32 v[8:9], s[18:19], v2, v61, 0
; %bb.364:                              ;   in Loop: Header=BB2_229 Depth=1
	s_or_b64 exec, exec, s[56:57]
	v_lshlrev_b64 v[2:3], 1, v[8:9]
	v_add_co_u32_e32 v2, vcc, v20, v2
	v_addc_co_u32_e32 v3, vcc, v21, v3, vcc
	ds_write_b64 v0, v[2:3] offset:728
	v_and_b32_e32 v2, 0x2000, v53
	v_cmp_ne_u32_e32 vcc, 0, v2
	s_and_saveexec_b64 s[18:19], vcc
	s_cbranch_execz .LBB2_366
; %bb.365:                              ;   in Loop: Header=BB2_229 Depth=1
	ds_read_b64 v[2:3], v0 offset:872
	s_waitcnt lgkmcnt(0)
	v_add_co_u32_e32 v2, vcc, 1, v2
	v_addc_co_u32_e32 v3, vcc, 0, v3, vcc
	ds_write_b64 v0, v[2:3] offset:872
.LBB2_366:                              ;   in Loop: Header=BB2_229 Depth=1
	s_or_b64 exec, exec, s[18:19]
	v_mov_b32_e32 v8, v29
	v_mov_b32_e32 v9, v30
.LBB2_367:                              ;   in Loop: Header=BB2_229 Depth=1
	s_or_b64 exec, exec, s[44:45]
	s_and_saveexec_b64 s[18:19], s[10:11]
	s_cbranch_execz .LBB2_386
; %bb.368:                              ;   in Loop: Header=BB2_229 Depth=1
	s_and_saveexec_b64 s[44:45], s[28:29]
	s_xor_b64 s[44:45], exec, s[44:45]
	s_cbranch_execz .LBB2_383
; %bb.369:                              ;   in Loop: Header=BB2_229 Depth=1
	s_and_saveexec_b64 s[56:57], s[12:13]
	s_cbranch_execz .LBB2_382
; %bb.370:                              ;   in Loop: Header=BB2_229 Depth=1
	s_mov_b64 s[60:61], exec
	v_mbcnt_lo_u32_b32 v2, s60, 0
	v_mbcnt_hi_u32_b32 v2, s61, v2
	v_cmp_eq_u32_e32 vcc, 0, v2
	s_waitcnt vmcnt(0) lgkmcnt(0)
	buffer_wbinvl1_vol
	s_and_saveexec_b64 s[58:59], vcc
	s_cbranch_execz .LBB2_372
; %bb.371:                              ;   in Loop: Header=BB2_229 Depth=1
	s_bcnt1_i32_b64 s60, s[60:61]
	v_mov_b32_e32 v24, s60
	ds_add_u64 v0, v[24:25]
	s_trap 2
.LBB2_372:                              ;   in Loop: Header=BB2_229 Depth=1
	s_or_b64 exec, exec, s[58:59]
	s_trap 2
	ds_read_b64 v[2:3], v0
	s_waitcnt lgkmcnt(0)
	v_add_co_u32_e32 v10, vcc, v10, v48
	v_addc_co_u32_e32 v11, vcc, 0, v11, vcc
	v_cmp_lt_u64_e32 vcc, v[2:3], v[10:11]
	s_and_saveexec_b64 s[58:59], vcc
	s_cbranch_execz .LBB2_381
; %bb.373:                              ;   in Loop: Header=BB2_229 Depth=1
	s_mov_b32 s88, 0
	s_mov_b64 s[60:61], 0
                                        ; implicit-def: $sgpr62_sgpr63
                                        ; implicit-def: $sgpr72_sgpr73
	s_branch .LBB2_375
.LBB2_374:                              ;   in Loop: Header=BB2_375 Depth=2
	s_or_b64 exec, exec, s[76:77]
	s_and_b64 s[74:75], exec, s[78:79]
	s_or_b64 s[60:61], s[74:75], s[60:61]
	s_andn2_b64 s[62:63], s[62:63], exec
	s_and_b64 s[74:75], s[72:73], exec
	s_or_b64 s[62:63], s[62:63], s[74:75]
	s_andn2_b64 exec, exec, s[60:61]
	s_cbranch_execz .LBB2_379
.LBB2_375:                              ;   Parent Loop BB2_229 Depth=1
                                        ; =>  This Inner Loop Header: Depth=2
	s_add_i32 s88, s88, 1
	s_cmpk_lg_i32 s88, 0x2710
	s_cselect_b64 s[74:75], -1, 0
	s_and_b64 vcc, exec, s[74:75]
	s_cbranch_vccz .LBB2_377
; %bb.376:                              ;   in Loop: Header=BB2_375 Depth=2
	s_mov_b64 s[78:79], -1
	s_or_b64 s[72:73], s[72:73], exec
	s_and_saveexec_b64 s[76:77], s[74:75]
	s_cbranch_execz .LBB2_374
	s_branch .LBB2_378
.LBB2_377:                              ;   in Loop: Header=BB2_375 Depth=2
	s_trap 2
	ds_read_b64 v[2:3], v0
	s_andn2_b64 s[74:75], s[74:75], exec
	s_mov_b32 s88, 0
	s_waitcnt lgkmcnt(0)
	flat_load_dword v2, v[2:3] glc
	s_waitcnt vmcnt(0) lgkmcnt(0)
	buffer_wbinvl1_vol
	v_cmp_eq_u32_e32 vcc, 0, v2
	s_and_b64 s[76:77], vcc, exec
	s_or_b64 s[74:75], s[74:75], s[76:77]
	s_mov_b64 s[78:79], -1
	s_or_b64 s[72:73], s[72:73], exec
	s_and_saveexec_b64 s[76:77], s[74:75]
	s_cbranch_execz .LBB2_374
.LBB2_378:                              ;   in Loop: Header=BB2_375 Depth=2
	s_sleep 1
	s_trap 2
	ds_read_b64 v[2:3], v0
	s_waitcnt lgkmcnt(0)
	s_andn2_b64 s[72:73], s[72:73], exec
	v_cmp_ge_u64_e32 vcc, v[2:3], v[10:11]
	s_orn2_b64 s[78:79], vcc, exec
	s_branch .LBB2_374
.LBB2_379:                              ;   in Loop: Header=BB2_229 Depth=1
	s_or_b64 exec, exec, s[60:61]
	s_and_saveexec_b64 s[60:61], s[62:63]
	s_xor_b64 s[60:61], exec, s[60:61]
	s_cbranch_execz .LBB2_381
; %bb.380:                              ;   in Loop: Header=BB2_229 Depth=1
	v_mov_b32_e32 v2, 1
	ds_write_b32 v0, v2
	s_trap 2
.LBB2_381:                              ;   in Loop: Header=BB2_229 Depth=1
	s_or_b64 exec, exec, s[58:59]
	;;#ASMSTART
	s_wakeup
	;;#ASMEND
.LBB2_382:                              ;   in Loop: Header=BB2_229 Depth=1
	s_or_b64 exec, exec, s[56:57]
.LBB2_383:                              ;   in Loop: Header=BB2_229 Depth=1
	s_andn2_saveexec_b64 s[44:45], s[44:45]
	s_cbranch_execz .LBB2_385
; %bb.384:                              ;   in Loop: Header=BB2_229 Depth=1
	s_waitcnt vmcnt(0) lgkmcnt(0)
	buffer_wbinvl1_vol
	s_barrier
.LBB2_385:                              ;   in Loop: Header=BB2_229 Depth=1
	s_or_b64 exec, exec, s[44:45]
.LBB2_386:                              ;   in Loop: Header=BB2_229 Depth=1
	s_or_b64 exec, exec, s[18:19]
	s_trap 2
	ds_read_b32 v2, v0
	v_sub_u32_e32 v3, v28, v34
	v_min_i32_e32 v3, v44, v3
	v_cmp_lt_i32_e32 vcc, 0, v3
	s_waitcnt lgkmcnt(0)
	v_readfirstlane_b32 s18, v2
	s_cmp_eq_u32 s18, 0
	s_cselect_b64 s[18:19], -1, 0
	v_and_b32_e32 v2, 16, v53
	s_and_b64 s[18:19], vcc, s[18:19]
	v_cmp_ne_u32_e32 vcc, 0, v2
	s_and_b64 s[44:45], vcc, s[18:19]
	s_and_saveexec_b64 s[18:19], s[44:45]
	s_cbranch_execz .LBB2_388
; %bb.387:                              ;   in Loop: Header=BB2_229 Depth=1
	s_waitcnt vmcnt(0)
	buffer_wbinvl1_vol
.LBB2_388:                              ;   in Loop: Header=BB2_229 Depth=1
	s_or_b64 exec, exec, s[18:19]
	v_and_b32_e32 v2, 32, v53
	v_cmp_ne_u32_e32 vcc, 0, v2
	s_and_saveexec_b64 s[18:19], vcc
	s_cbranch_execz .LBB2_227
; %bb.389:                              ;   in Loop: Header=BB2_229 Depth=1
	v_add_co_u32_e32 v8, vcc, 1, v8
	v_addc_co_u32_e32 v9, vcc, 0, v9, vcc
	flat_store_dwordx2 v[18:19], v[8:9]
	s_branch .LBB2_227
.LBB2_390:
	s_or_b64 exec, exec, s[40:41]
	buffer_load_dword v31, off, s[0:3], s33 offset:68 ; 4-byte Folded Reload
	buffer_load_dword v62, off, s[0:3], s33 offset:84 ; 4-byte Folded Reload
	;; [unrolled: 1-line block ×4, first 2 shown]
.LBB2_391:
	s_or_b64 exec, exec, s[26:27]
.LBB2_392:
	s_or_b64 exec, exec, s[20:21]
                                        ; implicit-def: $vgpr54_vgpr55
                                        ; implicit-def: $vgpr4_vgpr5
                                        ; implicit-def: $vgpr24_vgpr25
                                        ; implicit-def: $vgpr61
                                        ; implicit-def: $vgpr22_vgpr23
                                        ; implicit-def: $vgpr20_vgpr21
                                        ; implicit-def: $vgpr18_vgpr19
                                        ; implicit-def: $vgpr0
                                        ; implicit-def: $vgpr36
                                        ; implicit-def: $vgpr12
.LBB2_393:
	s_andn2_saveexec_b64 s[24:25], s[24:25]
	s_cbranch_execz .LBB2_567
; %bb.394:
	v_mov_b32_e32 v10, 0
	v_cmp_ne_u64_e32 vcc, 0, v[4:5]
	v_mov_b32_e32 v11, 0
	s_and_saveexec_b64 s[26:27], vcc
	s_cbranch_execz .LBB2_566
; %bb.395:
	s_waitcnt vmcnt(0)
	v_and_b32_e32 v2, 63, v31
	v_cmp_eq_u32_e64 s[12:13], 0, v2
	v_ashrrev_i32_e32 v2, 31, v0
	v_lshrrev_b32_e32 v2, 26, v2
	v_add_u32_e32 v2, v0, v2
	v_and_b32_e32 v3, 0xffffffc0, v2
	v_ashrrev_i32_e32 v40, 6, v2
	v_sub_u32_e32 v60, v0, v3
	v_lshlrev_b32_e32 v2, 11, v40
	v_lshl_add_u32 v2, v60, 4, v2
	v_ashrrev_i32_e32 v3, 31, v2
	buffer_store_dword v14, off, s[0:3], s33 offset:60 ; 4-byte Folded Spill
	s_nop 0
	buffer_store_dword v15, off, s[0:3], s33 offset:64 ; 4-byte Folded Spill
	s_lshr_b32 s6, s30, 27
	s_trap 2
	buffer_store_dword v2, off, s[0:3], s33 offset:68 ; 4-byte Folded Spill
	s_nop 0
	buffer_store_dword v3, off, s[0:3], s33 offset:72 ; 4-byte Folded Spill
	s_add_i32 s30, s30, s6
	v_cmp_eq_u32_e32 vcc, 64, v1
	v_lshrrev_b32_e32 v30, 6, v1
	v_lshlrev_b32_e32 v2, 1, v1
	s_waitcnt lgkmcnt(0)
	v_cmp_ne_u64_e64 s[18:19], 0, v[24:25]
	v_mov_b32_e32 v32, 0
	v_mov_b32_e32 v10, 0
	;; [unrolled: 1-line block ×3, first 2 shown]
	s_ashr_i32 s94, s30, 5
	v_cmp_ge_i32_e64 s[6:7], v0, v1
	v_cmp_ne_u32_e64 s[10:11], 64, v1
	v_cmp_ne_u32_sdwa s[28:29], v1, v62 src0_sel:DWORD src1_sel:WORD_0
	v_mov_b32_e32 v27, 0
	v_cmp_gt_i32_e64 s[14:15], 1, v60
	v_cmp_lt_i32_e64 s[16:17], v60, v36
	v_lshlrev_b32_e32 v41, 10, v30
	v_lshlrev_b32_e32 v42, 9, v30
	v_and_b32_e32 v43, 0x7f80, v2
	s_mov_b64 s[40:41], 0
	v_mov_b32_e32 v33, 0
	v_mov_b32_e32 v11, 0
	;; [unrolled: 1-line block ×3, first 2 shown]
	s_xor_b64 s[42:43], vcc, -1
	v_mov_b32_e32 v28, v24
	s_branch .LBB2_399
.LBB2_396:                              ;   in Loop: Header=BB2_399 Depth=1
	s_or_b64 exec, exec, s[44:45]
	v_add_co_u32_e32 v8, vcc, 1, v8
	v_addc_co_u32_e32 v9, vcc, 0, v9, vcc
	flat_store_dwordx2 v[18:19], v[8:9]
.LBB2_397:                              ;   in Loop: Header=BB2_399 Depth=1
	s_or_b64 exec, exec, s[20:21]
.LBB2_398:                              ;   in Loop: Header=BB2_399 Depth=1
	s_or_b64 exec, exec, s[46:47]
	v_add_co_u32_e32 v32, vcc, v32, v12
	v_addc_co_u32_e32 v33, vcc, 0, v33, vcc
	v_cmp_ge_u64_e32 vcc, v[32:33], v[4:5]
	s_or_b64 s[40:41], vcc, s[40:41]
	s_andn2_b64 exec, exec, s[40:41]
	s_cbranch_execz .LBB2_565
.LBB2_399:                              ; =>This Loop Header: Depth=1
                                        ;     Child Loop BB2_408 Depth 2
                                        ;     Child Loop BB2_432 Depth 2
	;; [unrolled: 1-line block ×10, first 2 shown]
	v_sub_co_u32_e32 v2, vcc, v4, v32
	v_subb_co_u32_e32 v3, vcc, v5, v33, vcc
	v_cmp_lt_u64_e32 vcc, v[12:13], v[2:3]
	v_cndmask_b32_e64 v35, v3, 0, vcc
	v_cndmask_b32_e32 v34, v2, v12, vcc
	v_cmp_eq_u64_e32 vcc, 0, v[34:35]
	v_add_u32_e32 v2, 15, v34
	v_and_b32_e32 v2, 0x3ffffff0, v2
	s_or_b64 s[44:45], s[6:7], vcc
	v_max_i32_e32 v39, s94, v2
	s_xor_b64 s[20:21], s[44:45], -1
	v_mov_b32_e32 v2, 0
	s_and_saveexec_b64 s[46:47], s[20:21]
	s_cbranch_execz .LBB2_518
; %bb.400:                              ;   in Loop: Header=BB2_399 Depth=1
	s_and_saveexec_b64 s[20:21], s[4:5]
	s_cbranch_execz .LBB2_402
; %bb.401:                              ;   in Loop: Header=BB2_399 Depth=1
	s_trap 2
	ds_read_b64 v[2:3], v0
	v_lshlrev_b64 v[14:15], 1, v[54:55]
	v_mov_b32_e32 v26, v27
	ds_write_b64 v0, v[26:27]
	s_waitcnt lgkmcnt(0)
	v_add_co_u32_e32 v14, vcc, v2, v14
	v_addc_co_u32_e32 v15, vcc, v3, v15, vcc
	v_lshlrev_b64 v[2:3], 1, v[32:33]
	v_add_co_u32_e32 v2, vcc, v14, v2
	v_addc_co_u32_e32 v3, vcc, v15, v3, vcc
	ds_write_b64 v0, v[2:3]
.LBB2_402:                              ;   in Loop: Header=BB2_399 Depth=1
	s_or_b64 exec, exec, s[20:21]
	v_and_b32_e32 v2, 8, v53
	v_min_u32_e32 v39, v39, v34
	v_cmp_ne_u32_e32 vcc, 0, v2
	s_and_saveexec_b64 s[56:57], vcc
	s_cbranch_execz .LBB2_424
; %bb.403:                              ;   in Loop: Header=BB2_399 Depth=1
	s_waitcnt vmcnt(0)
	v_add_co_u32_e32 v2, vcc, 8, v22
	v_addc_co_u32_e32 v3, vcc, 0, v23, vcc
	v_add_co_u32_e32 v35, vcc, 1, v8
	v_addc_co_u32_e32 v36, vcc, 0, v9, vcc
	v_cmp_lt_u64_e32 vcc, v[2:3], v[35:36]
	s_and_saveexec_b64 s[58:59], vcc
	s_cbranch_execz .LBB2_415
; %bb.404:                              ;   in Loop: Header=BB2_399 Depth=1
	v_and_b32_e32 v2, 64, v53
	s_mov_b32 s95, 0
	v_cmp_eq_u32_e32 vcc, 0, v2
	s_mov_b64 s[60:61], 0
                                        ; implicit-def: $sgpr62_sgpr63
                                        ; implicit-def: $sgpr72_sgpr73
                                        ; implicit-def: $sgpr74_sgpr75
	s_branch .LBB2_408
.LBB2_405:                              ;   in Loop: Header=BB2_408 Depth=2
	s_waitcnt vmcnt(0) lgkmcnt(0)
	v_add_co_u32_e64 v14, s[20:21], 8, v22
	v_addc_co_u32_e64 v15, s[20:21], 0, v23, s[20:21]
	v_cmp_ge_u64_e64 s[20:21], v[14:15], v[35:36]
	s_or_b64 s[88:89], s[88:89], exec
	s_orn2_b64 s[78:79], s[20:21], exec
.LBB2_406:                              ;   in Loop: Header=BB2_408 Depth=2
	s_or_b64 exec, exec, s[92:93]
	s_andn2_b64 s[20:21], s[74:75], exec
	s_and_b64 s[74:75], s[88:89], exec
	s_or_b64 s[74:75], s[20:21], s[74:75]
	s_andn2_b64 s[20:21], s[72:73], exec
	s_and_b64 s[72:73], s[78:79], exec
	s_or_b64 s[72:73], s[20:21], s[72:73]
.LBB2_407:                              ;   in Loop: Header=BB2_408 Depth=2
	s_or_b64 exec, exec, s[76:77]
	s_and_b64 s[20:21], exec, s[72:73]
	s_or_b64 s[60:61], s[20:21], s[60:61]
	s_andn2_b64 s[20:21], s[62:63], exec
	s_and_b64 s[62:63], s[74:75], exec
	s_or_b64 s[62:63], s[20:21], s[62:63]
	s_andn2_b64 exec, exec, s[60:61]
	s_cbranch_execz .LBB2_412
.LBB2_408:                              ;   Parent Loop BB2_399 Depth=1
                                        ; =>  This Inner Loop Header: Depth=2
	s_sleep 1
	s_waitcnt vmcnt(0) lgkmcnt(0)
	flat_load_dwordx2 v[22:23], v[18:19] glc
	s_or_b64 s[74:75], s[74:75], exec
	s_or_b64 s[72:73], s[72:73], exec
                                        ; implicit-def: $vgpr2
	s_and_saveexec_b64 s[76:77], vcc
	s_cbranch_execz .LBB2_407
; %bb.409:                              ;   in Loop: Header=BB2_408 Depth=2
	s_cmpk_lt_i32 s95, 0x270f
	s_cselect_b64 s[90:91], -1, 0
	s_cmpk_gt_i32 s95, 0x270e
	s_mov_b64 s[78:79], -1
	s_cbranch_scc0 .LBB2_411
; %bb.410:                              ;   in Loop: Header=BB2_408 Depth=2
	s_trap 2
	ds_read_b64 v[2:3], v0
	s_andn2_b64 s[90:91], s[90:91], exec
	s_mov_b32 s95, 0
	s_mov_b64 s[88:89], 0
	s_waitcnt vmcnt(0) lgkmcnt(0)
	flat_load_dword v2, v[2:3] glc
	s_waitcnt vmcnt(0) lgkmcnt(0)
	buffer_wbinvl1_vol
	v_cmp_eq_u32_e64 s[20:21], 0, v2
	s_and_b64 s[20:21], s[20:21], exec
	s_or_b64 s[90:91], s[90:91], s[20:21]
	s_and_saveexec_b64 s[92:93], s[90:91]
	s_cbranch_execz .LBB2_406
	s_branch .LBB2_405
.LBB2_411:                              ;   in Loop: Header=BB2_408 Depth=2
	s_add_i32 s95, s95, 1
	s_mov_b64 s[88:89], -1
                                        ; implicit-def: $vgpr2
	s_and_saveexec_b64 s[92:93], s[90:91]
	s_cbranch_execz .LBB2_406
	s_branch .LBB2_405
.LBB2_412:                              ;   in Loop: Header=BB2_399 Depth=1
	s_or_b64 exec, exec, s[60:61]
	s_xor_b64 s[20:21], s[62:63], -1
	s_and_saveexec_b64 s[60:61], s[20:21]
	s_xor_b64 s[20:21], exec, s[60:61]
	s_cbranch_execz .LBB2_414
; %bb.413:                              ;   in Loop: Header=BB2_399 Depth=1
	v_or_b32_e32 v53, 64, v53
	s_waitcnt lgkmcnt(0)
	ds_write_b32 v0, v2
	s_trap 2
.LBB2_414:                              ;   in Loop: Header=BB2_399 Depth=1
	s_or_b64 exec, exec, s[20:21]
.LBB2_415:                              ;   in Loop: Header=BB2_399 Depth=1
	s_or_b64 exec, exec, s[58:59]
	v_and_b32_e32 v2, 0x100, v53
	v_cmp_ne_u32_e32 vcc, 0, v2
	v_and_b32_e32 v2, 7, v8
	s_mov_b64 s[20:21], -1
	;;#ASMSTART
	s_wakeup
	;;#ASMEND
                                        ; implicit-def: $vgpr8_vgpr9
	s_and_saveexec_b64 s[58:59], vcc
	s_cbranch_execz .LBB2_419
; %bb.416:                              ;   in Loop: Header=BB2_399 Depth=1
	v_mad_u64_u32 v[37:38], s[20:21], v2, 24, v[6:7]
	v_lshlrev_b32_e32 v26, 1, v39
                                        ; implicit-def: $vgpr8_vgpr9
	flat_load_dword v3, v[37:38]
	s_nop 0
	flat_store_dwordx2 v[37:38], v[26:27] offset:8
	s_waitcnt vmcnt(0) lgkmcnt(0)
	v_cmp_ne_u32_e32 vcc, 1, v3
	v_cmp_eq_u32_e64 s[20:21], 1, v3
	s_and_saveexec_b64 s[60:61], s[20:21]
	s_cbranch_execz .LBB2_418
; %bb.417:                              ;   in Loop: Header=BB2_399 Depth=1
	flat_load_dword v8, v[37:38] offset:4 glc
	s_waitcnt vmcnt(0) lgkmcnt(0)
	v_ashrrev_i32_e32 v9, 31, v8
	v_lshrrev_b64 v[8:9], 1, v[8:9]
.LBB2_418:                              ;   in Loop: Header=BB2_399 Depth=1
	s_or_b64 exec, exec, s[60:61]
	s_orn2_b64 s[20:21], vcc, exec
.LBB2_419:                              ;   in Loop: Header=BB2_399 Depth=1
	s_or_b64 exec, exec, s[58:59]
	s_and_saveexec_b64 s[58:59], s[20:21]
; %bb.420:                              ;   in Loop: Header=BB2_399 Depth=1
	v_mad_i64_i32 v[8:9], s[20:21], v2, v61, 0
; %bb.421:                              ;   in Loop: Header=BB2_399 Depth=1
	s_or_b64 exec, exec, s[58:59]
	v_lshlrev_b64 v[2:3], 1, v[8:9]
	v_add_co_u32_e32 v2, vcc, v20, v2
	v_addc_co_u32_e32 v3, vcc, v21, v3, vcc
	ds_write_b64 v0, v[2:3] offset:784
	v_and_b32_e32 v2, 0x2000, v53
	v_cmp_ne_u32_e32 vcc, 0, v2
	s_and_saveexec_b64 s[20:21], vcc
	s_cbranch_execz .LBB2_423
; %bb.422:                              ;   in Loop: Header=BB2_399 Depth=1
	ds_read_b64 v[2:3], v0 offset:872
	s_waitcnt lgkmcnt(0)
	v_add_co_u32_e32 v2, vcc, 1, v2
	v_addc_co_u32_e32 v3, vcc, 0, v3, vcc
	ds_write_b64 v0, v[2:3] offset:872
.LBB2_423:                              ;   in Loop: Header=BB2_399 Depth=1
	s_or_b64 exec, exec, s[20:21]
	v_mov_b32_e32 v8, v35
	v_mov_b32_e32 v9, v36
.LBB2_424:                              ;   in Loop: Header=BB2_399 Depth=1
	s_or_b64 exec, exec, s[56:57]
	s_and_saveexec_b64 s[20:21], s[10:11]
	s_cbranch_execz .LBB2_443
; %bb.425:                              ;   in Loop: Header=BB2_399 Depth=1
	s_and_saveexec_b64 s[56:57], s[28:29]
	s_xor_b64 s[56:57], exec, s[56:57]
	s_cbranch_execz .LBB2_440
; %bb.426:                              ;   in Loop: Header=BB2_399 Depth=1
	s_and_saveexec_b64 s[58:59], s[12:13]
	s_cbranch_execz .LBB2_439
; %bb.427:                              ;   in Loop: Header=BB2_399 Depth=1
	s_mov_b64 s[62:63], exec
	v_mbcnt_lo_u32_b32 v2, s62, 0
	v_mbcnt_hi_u32_b32 v2, s63, v2
	v_cmp_eq_u32_e32 vcc, 0, v2
	s_waitcnt vmcnt(0) lgkmcnt(0)
	buffer_wbinvl1_vol
	s_and_saveexec_b64 s[60:61], vcc
	s_cbranch_execz .LBB2_429
; %bb.428:                              ;   in Loop: Header=BB2_399 Depth=1
	s_bcnt1_i32_b64 s62, s[62:63]
	v_mov_b32_e32 v26, s62
	ds_add_u64 v0, v[26:27]
	s_trap 2
.LBB2_429:                              ;   in Loop: Header=BB2_399 Depth=1
	s_or_b64 exec, exec, s[60:61]
	s_trap 2
	ds_read_b64 v[2:3], v0
	s_waitcnt lgkmcnt(0)
	v_add_co_u32_e32 v10, vcc, v10, v30
	v_addc_co_u32_e32 v11, vcc, 0, v11, vcc
	v_cmp_lt_u64_e32 vcc, v[2:3], v[10:11]
	s_and_saveexec_b64 s[60:61], vcc
	s_cbranch_execz .LBB2_438
; %bb.430:                              ;   in Loop: Header=BB2_399 Depth=1
	s_mov_b32 s90, 0
	s_mov_b64 s[62:63], 0
                                        ; implicit-def: $sgpr72_sgpr73
                                        ; implicit-def: $sgpr74_sgpr75
	s_branch .LBB2_432
.LBB2_431:                              ;   in Loop: Header=BB2_432 Depth=2
	s_or_b64 exec, exec, s[78:79]
	s_and_b64 s[76:77], exec, s[88:89]
	s_or_b64 s[62:63], s[76:77], s[62:63]
	s_andn2_b64 s[72:73], s[72:73], exec
	s_and_b64 s[76:77], s[74:75], exec
	s_or_b64 s[72:73], s[72:73], s[76:77]
	s_andn2_b64 exec, exec, s[62:63]
	s_cbranch_execz .LBB2_436
.LBB2_432:                              ;   Parent Loop BB2_399 Depth=1
                                        ; =>  This Inner Loop Header: Depth=2
	s_add_i32 s90, s90, 1
	s_cmpk_lg_i32 s90, 0x2710
	s_cselect_b64 s[76:77], -1, 0
	s_and_b64 vcc, exec, s[76:77]
	s_cbranch_vccz .LBB2_434
; %bb.433:                              ;   in Loop: Header=BB2_432 Depth=2
	s_mov_b64 s[88:89], -1
	s_or_b64 s[74:75], s[74:75], exec
	s_and_saveexec_b64 s[78:79], s[76:77]
	s_cbranch_execz .LBB2_431
	s_branch .LBB2_435
.LBB2_434:                              ;   in Loop: Header=BB2_432 Depth=2
	s_trap 2
	ds_read_b64 v[2:3], v0
	s_andn2_b64 s[76:77], s[76:77], exec
	s_mov_b32 s90, 0
	s_waitcnt lgkmcnt(0)
	flat_load_dword v2, v[2:3] glc
	s_waitcnt vmcnt(0) lgkmcnt(0)
	buffer_wbinvl1_vol
	v_cmp_eq_u32_e32 vcc, 0, v2
	s_and_b64 s[78:79], vcc, exec
	s_or_b64 s[76:77], s[76:77], s[78:79]
	s_mov_b64 s[88:89], -1
	s_or_b64 s[74:75], s[74:75], exec
	s_and_saveexec_b64 s[78:79], s[76:77]
	s_cbranch_execz .LBB2_431
.LBB2_435:                              ;   in Loop: Header=BB2_432 Depth=2
	s_sleep 1
	s_trap 2
	ds_read_b64 v[2:3], v0
	s_waitcnt lgkmcnt(0)
	s_andn2_b64 s[74:75], s[74:75], exec
	v_cmp_ge_u64_e32 vcc, v[2:3], v[10:11]
	s_orn2_b64 s[88:89], vcc, exec
	s_branch .LBB2_431
.LBB2_436:                              ;   in Loop: Header=BB2_399 Depth=1
	s_or_b64 exec, exec, s[62:63]
	s_and_saveexec_b64 s[62:63], s[72:73]
	s_xor_b64 s[62:63], exec, s[62:63]
	s_cbranch_execz .LBB2_438
; %bb.437:                              ;   in Loop: Header=BB2_399 Depth=1
	ds_write_b32 v0, v44
	s_trap 2
.LBB2_438:                              ;   in Loop: Header=BB2_399 Depth=1
	s_or_b64 exec, exec, s[60:61]
	;;#ASMSTART
	s_wakeup
	;;#ASMEND
.LBB2_439:                              ;   in Loop: Header=BB2_399 Depth=1
	s_or_b64 exec, exec, s[58:59]
.LBB2_440:                              ;   in Loop: Header=BB2_399 Depth=1
	s_andn2_saveexec_b64 s[56:57], s[56:57]
	s_cbranch_execz .LBB2_442
; %bb.441:                              ;   in Loop: Header=BB2_399 Depth=1
	s_waitcnt vmcnt(0) lgkmcnt(0)
	buffer_wbinvl1_vol
	s_barrier
.LBB2_442:                              ;   in Loop: Header=BB2_399 Depth=1
	s_or_b64 exec, exec, s[56:57]
.LBB2_443:                              ;   in Loop: Header=BB2_399 Depth=1
	s_or_b64 exec, exec, s[20:21]
	s_trap 2
	ds_read_b32 v48, v0
	v_and_b32_e32 v2, 0x4000, v53
	v_cmp_ne_u32_e32 vcc, 0, v2
	s_and_b64 s[56:57], s[42:43], vcc
	s_and_saveexec_b64 s[20:21], s[56:57]
	s_cbranch_execz .LBB2_462
; %bb.444:                              ;   in Loop: Header=BB2_399 Depth=1
	s_and_saveexec_b64 s[56:57], s[28:29]
	s_xor_b64 s[56:57], exec, s[56:57]
	s_cbranch_execz .LBB2_459
; %bb.445:                              ;   in Loop: Header=BB2_399 Depth=1
	s_and_saveexec_b64 s[58:59], s[12:13]
	s_cbranch_execz .LBB2_458
; %bb.446:                              ;   in Loop: Header=BB2_399 Depth=1
	s_mov_b64 s[62:63], exec
	v_mbcnt_lo_u32_b32 v2, s62, 0
	v_mbcnt_hi_u32_b32 v2, s63, v2
	v_cmp_eq_u32_e32 vcc, 0, v2
	s_waitcnt vmcnt(0) lgkmcnt(0)
	buffer_wbinvl1_vol
	s_and_saveexec_b64 s[60:61], vcc
	s_cbranch_execz .LBB2_448
; %bb.447:                              ;   in Loop: Header=BB2_399 Depth=1
	s_bcnt1_i32_b64 s62, s[62:63]
	v_mov_b32_e32 v26, s62
	ds_add_u64 v0, v[26:27]
	s_trap 2
.LBB2_448:                              ;   in Loop: Header=BB2_399 Depth=1
	s_or_b64 exec, exec, s[60:61]
	s_trap 2
	ds_read_b64 v[2:3], v0
	s_waitcnt lgkmcnt(0)
	v_add_co_u32_e32 v10, vcc, v10, v30
	v_addc_co_u32_e32 v11, vcc, 0, v11, vcc
	v_cmp_lt_u64_e32 vcc, v[2:3], v[10:11]
	s_and_saveexec_b64 s[60:61], vcc
	s_cbranch_execz .LBB2_457
; %bb.449:                              ;   in Loop: Header=BB2_399 Depth=1
	s_mov_b32 s90, 0
	s_mov_b64 s[62:63], 0
                                        ; implicit-def: $sgpr72_sgpr73
                                        ; implicit-def: $sgpr74_sgpr75
	s_branch .LBB2_451
.LBB2_450:                              ;   in Loop: Header=BB2_451 Depth=2
	s_or_b64 exec, exec, s[78:79]
	s_and_b64 s[76:77], exec, s[88:89]
	s_or_b64 s[62:63], s[76:77], s[62:63]
	s_andn2_b64 s[72:73], s[72:73], exec
	s_and_b64 s[76:77], s[74:75], exec
	s_or_b64 s[72:73], s[72:73], s[76:77]
	s_andn2_b64 exec, exec, s[62:63]
	s_cbranch_execz .LBB2_455
.LBB2_451:                              ;   Parent Loop BB2_399 Depth=1
                                        ; =>  This Inner Loop Header: Depth=2
	s_add_i32 s90, s90, 1
	s_cmpk_lg_i32 s90, 0x2710
	s_cselect_b64 s[76:77], -1, 0
	s_and_b64 vcc, exec, s[76:77]
	s_cbranch_vccz .LBB2_453
; %bb.452:                              ;   in Loop: Header=BB2_451 Depth=2
	s_mov_b64 s[88:89], -1
	s_or_b64 s[74:75], s[74:75], exec
	s_and_saveexec_b64 s[78:79], s[76:77]
	s_cbranch_execz .LBB2_450
	s_branch .LBB2_454
.LBB2_453:                              ;   in Loop: Header=BB2_451 Depth=2
	s_trap 2
	ds_read_b64 v[2:3], v0
	s_andn2_b64 s[76:77], s[76:77], exec
	s_mov_b32 s90, 0
	s_waitcnt lgkmcnt(0)
	flat_load_dword v2, v[2:3] glc
	s_waitcnt vmcnt(0) lgkmcnt(0)
	buffer_wbinvl1_vol
	v_cmp_eq_u32_e32 vcc, 0, v2
	s_and_b64 s[78:79], vcc, exec
	s_or_b64 s[76:77], s[76:77], s[78:79]
	s_mov_b64 s[88:89], -1
	s_or_b64 s[74:75], s[74:75], exec
	s_and_saveexec_b64 s[78:79], s[76:77]
	s_cbranch_execz .LBB2_450
.LBB2_454:                              ;   in Loop: Header=BB2_451 Depth=2
	s_sleep 1
	s_trap 2
	ds_read_b64 v[2:3], v0
	s_waitcnt lgkmcnt(0)
	s_andn2_b64 s[74:75], s[74:75], exec
	v_cmp_ge_u64_e32 vcc, v[2:3], v[10:11]
	s_orn2_b64 s[88:89], vcc, exec
	s_branch .LBB2_450
.LBB2_455:                              ;   in Loop: Header=BB2_399 Depth=1
	s_or_b64 exec, exec, s[62:63]
	s_and_saveexec_b64 s[62:63], s[72:73]
	s_xor_b64 s[62:63], exec, s[62:63]
	s_cbranch_execz .LBB2_457
; %bb.456:                              ;   in Loop: Header=BB2_399 Depth=1
	ds_write_b32 v0, v44
	s_trap 2
.LBB2_457:                              ;   in Loop: Header=BB2_399 Depth=1
	s_or_b64 exec, exec, s[60:61]
	;;#ASMSTART
	s_wakeup
	;;#ASMEND
.LBB2_458:                              ;   in Loop: Header=BB2_399 Depth=1
	s_or_b64 exec, exec, s[58:59]
.LBB2_459:                              ;   in Loop: Header=BB2_399 Depth=1
	s_andn2_saveexec_b64 s[56:57], s[56:57]
	s_cbranch_execz .LBB2_461
; %bb.460:                              ;   in Loop: Header=BB2_399 Depth=1
	s_waitcnt vmcnt(0) lgkmcnt(0)
	buffer_wbinvl1_vol
	s_barrier
.LBB2_461:                              ;   in Loop: Header=BB2_399 Depth=1
	s_or_b64 exec, exec, s[56:57]
.LBB2_462:                              ;   in Loop: Header=BB2_399 Depth=1
	s_or_b64 exec, exec, s[20:21]
	s_trap 2
	ds_read_b64 v[35:36], v0
	s_waitcnt lgkmcnt(0)
	v_cmp_eq_u64_e32 vcc, 0, v[35:36]
	s_cbranch_vccnz .LBB2_470
; %bb.463:                              ;   in Loop: Header=BB2_399 Depth=1
	s_trap 2
	ds_read_b64 v[37:38], v0
	s_waitcnt lgkmcnt(0)
	v_cmp_eq_u64_e32 vcc, 0, v[37:38]
	s_cbranch_vccnz .LBB2_470
; %bb.464:                              ;   in Loop: Header=BB2_399 Depth=1
	s_mov_b64 s[20:21], -1
	s_and_saveexec_b64 s[56:57], s[14:15]
	s_cbranch_execz .LBB2_466
; %bb.465:                              ;   in Loop: Header=BB2_399 Depth=1
	ds_read_b32 v2, v0 offset:720
	s_waitcnt lgkmcnt(0)
	v_and_b32_e32 v2, 15, v2
	v_cmp_eq_u32_e32 vcc, 0, v2
	s_orn2_b64 s[20:21], vcc, exec
.LBB2_466:                              ;   in Loop: Header=BB2_399 Depth=1
	s_or_b64 exec, exec, s[56:57]
	s_and_saveexec_b64 s[56:57], s[16:17]
	s_cbranch_execz .LBB2_468
; %bb.467:                              ;   in Loop: Header=BB2_399 Depth=1
	ds_read_b32 v2, v0 offset:784
	s_waitcnt lgkmcnt(0)
	v_and_b32_e32 v2, 15, v2
	v_cmp_eq_u32_e32 vcc, 0, v2
	s_and_b64 s[58:59], s[20:21], vcc
	s_andn2_b64 s[20:21], s[20:21], exec
	s_and_b64 s[58:59], s[58:59], exec
	s_or_b64 s[20:21], s[20:21], s[58:59]
.LBB2_468:                              ;   in Loop: Header=BB2_399 Depth=1
	s_or_b64 exec, exec, s[56:57]
	v_cmp_eq_u32_e32 vcc, 0, v48
	s_xor_b64 s[20:21], s[20:21], -1
	v_cndmask_b32_e32 v26, 0, v39, vcc
	v_cndmask_b32_e64 v2, 0, 1, s[20:21]
	v_lshlrev_b32_e32 v45, 1, v26
	s_mov_b64 s[58:59], -1
	v_cmp_ne_u32_e32 vcc, 0, v2
	v_mov_b32_e32 v46, 0
	s_cbranch_vccz .LBB2_471
; %bb.469:                              ;   in Loop: Header=BB2_399 Depth=1
	v_mov_b32_e32 v47, v0
	v_mov_b32_e32 v51, v40
	s_and_saveexec_b64 s[20:21], s[58:59]
	s_cbranch_execnz .LBB2_484
	s_branch .LBB2_492
.LBB2_470:                              ;   in Loop: Header=BB2_399 Depth=1
	s_mov_b64 s[20:21], 0
	s_and_saveexec_b64 s[56:57], s[10:11]
	s_cbranch_execnz .LBB2_493
	s_branch .LBB2_511
.LBB2_471:                              ;   in Loop: Header=BB2_399 Depth=1
	v_lshrrev_b32_e32 v2, 10, v26
	v_sub_u32_e32 v3, v2, v40
	v_cmp_lt_i32_e32 vcc, 0, v3
	s_and_saveexec_b64 s[20:21], vcc
	s_cbranch_execz .LBB2_475
; %bb.472:                              ;   in Loop: Header=BB2_399 Depth=1
	buffer_load_dword v48, off, s[0:3], s33 offset:68 ; 4-byte Folded Reload
	buffer_load_dword v49, off, s[0:3], s33 offset:72 ; 4-byte Folded Reload
	s_mov_b64 s[56:57], 0
.LBB2_473:                              ;   Parent Loop BB2_399 Depth=1
                                        ; =>  This Inner Loop Header: Depth=2
	s_waitcnt vmcnt(0)
	v_add_co_u32_e32 v14, vcc, v35, v48
	v_addc_co_u32_e32 v15, vcc, v36, v49, vcc
	global_load_dwordx4 v[56:59], v[14:15], off glc slc
	s_nop 0
	global_load_dwordx4 v[14:17], v[14:15], off offset:1024 glc slc
	v_add_co_u32_e32 v24, vcc, v37, v48
	v_addc_co_u32_e32 v25, vcc, v38, v49, vcc
	v_lshlrev_b32_e32 v50, 11, v30
	v_add_co_u32_e32 v48, vcc, v48, v50
	v_sub_u32_e32 v3, v3, v30
	v_addc_co_u32_e32 v49, vcc, 0, v49, vcc
	v_cmp_gt_i32_e32 vcc, 1, v3
	s_or_b64 s[56:57], vcc, s[56:57]
	s_waitcnt vmcnt(1)
	global_store_dwordx4 v[24:25], v[56:59], off glc slc
	s_waitcnt vmcnt(1)
	global_store_dwordx4 v[24:25], v[14:17], off offset:1024 glc slc
	s_andn2_b64 exec, exec, s[56:57]
	s_cbranch_execnz .LBB2_473
; %bb.474:                              ;   in Loop: Header=BB2_399 Depth=1
	s_or_b64 exec, exec, s[56:57]
	v_mov_b32_e32 v24, v28
	v_mov_b32_e32 v25, v29
.LBB2_475:                              ;   in Loop: Header=BB2_399 Depth=1
	s_or_b64 exec, exec, s[20:21]
	v_lshlrev_b32_e32 v2, 11, v2
	v_cmp_ne_u32_e32 vcc, v45, v2
	s_mov_b64 s[58:59], 0
	v_mov_b32_e32 v46, 0
                                        ; implicit-def: $vgpr47
                                        ; implicit-def: $vgpr51
	s_and_saveexec_b64 s[56:57], vcc
	s_cbranch_execz .LBB2_483
; %bb.476:                              ;   in Loop: Header=BB2_399 Depth=1
	v_lshlrev_b32_e32 v3, 6, v3
	v_sub_u32_e32 v3, v60, v3
	v_ashrrev_i32_e32 v15, 31, v3
	v_lshrrev_b32_e32 v15, 26, v15
	v_add_u32_e32 v15, v3, v15
	v_ashrrev_i32_e32 v16, 6, v15
	v_and_b32_e32 v15, 0xffffffc0, v15
	v_sub_u32_e32 v3, v3, v15
	v_sub_u32_e32 v14, v45, v2
	v_lshlrev_b32_e32 v15, 4, v3
	v_lshl_add_u32 v46, v16, 10, v15
	v_ashrrev_i32_e32 v15, 31, v14
	v_lshrrev_b32_e32 v15, 22, v15
	v_add_u32_e32 v15, v14, v15
	v_and_b32_e32 v48, 0xfffffc00, v15
	v_sub_u32_e32 v50, v14, v48
	v_ashrrev_i32_e32 v17, 10, v15
	v_cmp_lt_i32_e32 vcc, 15, v50
	v_sub_u32_e32 v51, v14, v46
	v_addc_co_u32_e64 v14, s[20:21], 0, v17, vcc
	v_sub_u32_e32 v49, v14, v16
	v_cmp_lt_i32_e64 s[20:21], 15, v51
	s_and_saveexec_b64 s[58:59], s[20:21]
	s_cbranch_execz .LBB2_480
; %bb.477:                              ;   in Loop: Header=BB2_399 Depth=1
	v_add_u32_e32 v46, v46, v2
	v_ashrrev_i32_e32 v47, 31, v46
	s_mov_b64 s[60:61], 0
.LBB2_478:                              ;   Parent Loop BB2_399 Depth=1
                                        ; =>  This Inner Loop Header: Depth=2
	v_add_co_u32_e64 v14, s[20:21], v35, v46
	v_addc_co_u32_e64 v15, s[20:21], v36, v47, s[20:21]
	global_load_dwordx4 v[14:17], v[14:15], off glc slc
	v_add_co_u32_e64 v24, s[20:21], v37, v46
	v_addc_co_u32_e64 v25, s[20:21], v38, v47, s[20:21]
	v_add_co_u32_e64 v46, s[20:21], v46, v41
	v_sub_u32_e32 v51, v51, v41
	v_addc_co_u32_e64 v47, s[20:21], 0, v47, s[20:21]
	v_cmp_gt_i32_e64 s[20:21], 16, v51
	v_sub_u32_e32 v49, v49, v30
	s_or_b64 s[60:61], s[20:21], s[60:61]
	s_waitcnt vmcnt(0)
	global_store_dwordx4 v[24:25], v[14:17], off glc slc
	s_andn2_b64 exec, exec, s[60:61]
	s_cbranch_execnz .LBB2_478
; %bb.479:                              ;   in Loop: Header=BB2_399 Depth=1
	s_or_b64 exec, exec, s[60:61]
	v_mov_b32_e32 v24, v28
	v_mov_b32_e32 v25, v29
.LBB2_480:                              ;   in Loop: Header=BB2_399 Depth=1
	s_or_b64 exec, exec, s[58:59]
	v_and_b32_e32 v56, 14, v45
	v_cndmask_b32_e32 v45, v50, v56, vcc
	v_mov_b32_e32 v46, 0
	v_cmp_ne_u32_e64 s[20:21], 0, v45
	s_mov_b64 s[58:59], 0
                                        ; implicit-def: $vgpr47
                                        ; implicit-def: $vgpr51
	s_and_saveexec_b64 s[60:61], s[20:21]
	s_cbranch_execz .LBB2_482
; %bb.481:                              ;   in Loop: Header=BB2_399 Depth=1
	v_sub_u32_e32 v14, v50, v56
	v_cndmask_b32_e32 v14, 0, v14, vcc
	v_cmp_lt_i32_e32 vcc, 0, v49
	v_add3_u32 v46, v48, v2, v14
	v_cndmask_b32_e32 v2, 0, v30, vcc
	v_sub_u32_e32 v2, v2, v49
	v_lshl_add_u32 v47, v2, 6, v3
	v_ashrrev_i32_e32 v2, 31, v47
	v_lshrrev_b32_e32 v2, 26, v2
	v_add_u32_e32 v2, v47, v2
	s_mov_b64 s[58:59], exec
	v_ashrrev_i32_e32 v51, 6, v2
.LBB2_482:                              ;   in Loop: Header=BB2_399 Depth=1
	s_or_b64 exec, exec, s[60:61]
	s_and_b64 s[58:59], s[58:59], exec
.LBB2_483:                              ;   in Loop: Header=BB2_399 Depth=1
	s_or_b64 exec, exec, s[56:57]
	s_and_saveexec_b64 s[20:21], s[58:59]
	s_cbranch_execz .LBB2_492
.LBB2_484:                              ;   in Loop: Header=BB2_399 Depth=1
	v_ashrrev_i32_e32 v2, 31, v45
	v_lshrrev_b32_e32 v2, 23, v2
	v_add_u32_e32 v2, v45, v2
	v_ashrrev_i32_e32 v56, 9, v2
	v_sub_u32_e32 v2, v56, v51
	v_ashrrev_i32_e32 v3, 31, v47
	v_cmp_lt_i32_e32 vcc, 0, v2
	v_lshrrev_b32_e32 v3, 26, v3
	s_and_saveexec_b64 s[56:57], vcc
	s_cbranch_execz .LBB2_488
; %bb.485:                              ;   in Loop: Header=BB2_399 Depth=1
	v_add_u32_e32 v14, v47, v3
	v_and_b32_e32 v14, 0x7fffffc0, v14
	v_sub_u32_e32 v14, v47, v14
	v_lshlrev_b32_e32 v14, 1, v14
	v_lshlrev_b32_e32 v15, 9, v51
	v_add3_u32 v57, v14, v46, v15
	v_mov_b32_e32 v49, v38
	v_mov_b32_e32 v51, v36
	v_ashrrev_i32_e32 v58, 31, v57
	s_mov_b64 s[58:59], 0
	v_mov_b32_e32 v48, v37
	v_mov_b32_e32 v50, v35
.LBB2_486:                              ;   Parent Loop BB2_399 Depth=1
                                        ; =>  This Inner Loop Header: Depth=2
	v_add_co_u32_e32 v14, vcc, v57, v50
	v_addc_co_u32_e32 v15, vcc, v58, v51, vcc
	flat_load_ushort v16, v[14:15] glc slc
	flat_load_ushort v17, v[14:15] offset:128 glc slc
	flat_load_ushort v24, v[14:15] offset:256 glc slc
	;; [unrolled: 1-line block ×3, first 2 shown]
	v_add_co_u32_e32 v14, vcc, v57, v48
	v_addc_co_u32_e32 v15, vcc, v58, v49, vcc
	v_add_co_u32_e32 v50, vcc, v50, v42
	v_addc_co_u32_e32 v51, vcc, 0, v51, vcc
	v_add_co_u32_e32 v48, vcc, v48, v42
	v_sub_u32_e32 v2, v2, v30
	v_addc_co_u32_e32 v49, vcc, 0, v49, vcc
	v_cmp_gt_i32_e32 vcc, 1, v2
	s_or_b64 s[58:59], vcc, s[58:59]
	s_waitcnt vmcnt(0) lgkmcnt(0)
	flat_store_short v[14:15], v16 glc slc
	flat_store_short v[14:15], v17 offset:128 glc slc
	flat_store_short v[14:15], v24 offset:256 glc slc
	;; [unrolled: 1-line block ×3, first 2 shown]
	s_andn2_b64 exec, exec, s[58:59]
	s_cbranch_execnz .LBB2_486
; %bb.487:                              ;   in Loop: Header=BB2_399 Depth=1
	s_or_b64 exec, exec, s[58:59]
	v_mov_b32_e32 v24, v28
	v_mov_b32_e32 v25, v29
.LBB2_488:                              ;   in Loop: Header=BB2_399 Depth=1
	s_or_b64 exec, exec, s[56:57]
	v_lshlrev_b32_e32 v48, 9, v56
	v_cmp_ne_u32_e32 vcc, v45, v48
	s_and_b64 exec, exec, vcc
	s_cbranch_execz .LBB2_492
; %bb.489:                              ;   in Loop: Header=BB2_399 Depth=1
	v_add_u32_e32 v3, v47, v3
	v_and_b32_e32 v3, 0xffffffc0, v3
	v_sub_u32_e32 v3, v47, v3
	v_lshlrev_b32_e32 v2, 6, v2
	v_sub_u32_e32 v2, v3, v2
	v_ashrrev_i32_e32 v3, 31, v2
	v_lshrrev_b32_e32 v3, 26, v3
	v_add_u32_e32 v3, v2, v3
	v_and_b32_e32 v14, 0x7fffffc0, v3
	v_sub_u32_e32 v2, v2, v14
	v_lshlrev_b32_e32 v3, 1, v3
	v_and_b32_e32 v3, 0xffffff80, v3
	v_lshlrev_b32_e32 v2, 1, v2
	v_add3_u32 v3, v3, v2, v48
	v_sub_u32_e32 v2, v45, v3
	v_cmp_lt_i32_e32 vcc, 1, v2
	s_and_b64 exec, exec, vcc
	s_cbranch_execz .LBB2_492
; %bb.490:                              ;   in Loop: Header=BB2_399 Depth=1
	v_add_u32_e32 v3, v3, v46
	v_ashrrev_i32_e32 v48, 31, v3
	s_mov_b64 s[56:57], 0
.LBB2_491:                              ;   Parent Loop BB2_399 Depth=1
                                        ; =>  This Inner Loop Header: Depth=2
	v_add_co_u32_e32 v14, vcc, v35, v3
	v_addc_co_u32_e32 v15, vcc, v36, v48, vcc
	flat_load_ushort v16, v[14:15] glc slc
	v_add_co_u32_e32 v14, vcc, v37, v3
	v_addc_co_u32_e32 v15, vcc, v38, v48, vcc
	v_add_co_u32_e32 v3, vcc, v3, v43
	v_sub_u32_e32 v2, v2, v43
	v_addc_co_u32_e32 v48, vcc, 0, v48, vcc
	v_cmp_gt_i32_e32 vcc, 2, v2
	s_or_b64 s[56:57], vcc, s[56:57]
	s_waitcnt vmcnt(0) lgkmcnt(0)
	flat_store_short v[14:15], v16 glc slc
	s_andn2_b64 exec, exec, s[56:57]
	s_cbranch_execnz .LBB2_491
.LBB2_492:                              ;   in Loop: Header=BB2_399 Depth=1
	s_or_b64 exec, exec, s[20:21]
	v_cmp_ne_u32_e64 s[20:21], 0, v26
	s_and_saveexec_b64 s[56:57], s[10:11]
	s_cbranch_execz .LBB2_511
.LBB2_493:                              ;   in Loop: Header=BB2_399 Depth=1
	s_and_saveexec_b64 s[58:59], s[28:29]
	s_xor_b64 s[58:59], exec, s[58:59]
	s_cbranch_execz .LBB2_508
; %bb.494:                              ;   in Loop: Header=BB2_399 Depth=1
	s_and_saveexec_b64 s[60:61], s[12:13]
	s_cbranch_execz .LBB2_507
; %bb.495:                              ;   in Loop: Header=BB2_399 Depth=1
	s_mov_b64 s[72:73], exec
	v_mbcnt_lo_u32_b32 v2, s72, 0
	v_mbcnt_hi_u32_b32 v2, s73, v2
	v_cmp_eq_u32_e32 vcc, 0, v2
	s_waitcnt vmcnt(0) lgkmcnt(0)
	buffer_wbinvl1_vol
	s_and_saveexec_b64 s[62:63], vcc
	s_cbranch_execz .LBB2_497
; %bb.496:                              ;   in Loop: Header=BB2_399 Depth=1
	s_bcnt1_i32_b64 s72, s[72:73]
	v_mov_b32_e32 v26, s72
	ds_add_u64 v0, v[26:27]
	s_trap 2
.LBB2_497:                              ;   in Loop: Header=BB2_399 Depth=1
	s_or_b64 exec, exec, s[62:63]
	s_trap 2
	ds_read_b64 v[2:3], v0
	s_waitcnt lgkmcnt(0)
	v_add_co_u32_e32 v10, vcc, v10, v30
	v_addc_co_u32_e32 v11, vcc, 0, v11, vcc
	v_cmp_lt_u64_e32 vcc, v[2:3], v[10:11]
	s_and_saveexec_b64 s[62:63], vcc
	s_cbranch_execz .LBB2_506
; %bb.498:                              ;   in Loop: Header=BB2_399 Depth=1
	s_mov_b32 s92, 0
	s_mov_b64 s[72:73], 0
                                        ; implicit-def: $sgpr74_sgpr75
                                        ; implicit-def: $sgpr76_sgpr77
	s_branch .LBB2_500
.LBB2_499:                              ;   in Loop: Header=BB2_500 Depth=2
	s_or_b64 exec, exec, s[88:89]
	s_and_b64 s[78:79], exec, s[90:91]
	s_or_b64 s[72:73], s[78:79], s[72:73]
	s_andn2_b64 s[74:75], s[74:75], exec
	s_and_b64 s[78:79], s[76:77], exec
	s_or_b64 s[74:75], s[74:75], s[78:79]
	s_andn2_b64 exec, exec, s[72:73]
	s_cbranch_execz .LBB2_504
.LBB2_500:                              ;   Parent Loop BB2_399 Depth=1
                                        ; =>  This Inner Loop Header: Depth=2
	s_add_i32 s92, s92, 1
	s_cmpk_lg_i32 s92, 0x2710
	s_cselect_b64 s[78:79], -1, 0
	s_and_b64 vcc, exec, s[78:79]
	s_cbranch_vccz .LBB2_502
; %bb.501:                              ;   in Loop: Header=BB2_500 Depth=2
	s_mov_b64 s[90:91], -1
	s_or_b64 s[76:77], s[76:77], exec
	s_and_saveexec_b64 s[88:89], s[78:79]
	s_cbranch_execz .LBB2_499
	s_branch .LBB2_503
.LBB2_502:                              ;   in Loop: Header=BB2_500 Depth=2
	s_trap 2
	ds_read_b64 v[2:3], v0
	s_andn2_b64 s[78:79], s[78:79], exec
	s_mov_b32 s92, 0
	s_waitcnt lgkmcnt(0)
	flat_load_dword v2, v[2:3] glc
	s_waitcnt vmcnt(0) lgkmcnt(0)
	buffer_wbinvl1_vol
	v_cmp_eq_u32_e32 vcc, 0, v2
	s_and_b64 s[88:89], vcc, exec
	s_or_b64 s[78:79], s[78:79], s[88:89]
	s_mov_b64 s[90:91], -1
	s_or_b64 s[76:77], s[76:77], exec
	s_and_saveexec_b64 s[88:89], s[78:79]
	s_cbranch_execz .LBB2_499
.LBB2_503:                              ;   in Loop: Header=BB2_500 Depth=2
	s_sleep 1
	s_trap 2
	ds_read_b64 v[2:3], v0
	s_waitcnt lgkmcnt(0)
	s_andn2_b64 s[76:77], s[76:77], exec
	v_cmp_ge_u64_e32 vcc, v[2:3], v[10:11]
	s_orn2_b64 s[90:91], vcc, exec
	s_branch .LBB2_499
.LBB2_504:                              ;   in Loop: Header=BB2_399 Depth=1
	s_or_b64 exec, exec, s[72:73]
	s_and_saveexec_b64 s[72:73], s[74:75]
	s_xor_b64 s[72:73], exec, s[72:73]
	s_cbranch_execz .LBB2_506
; %bb.505:                              ;   in Loop: Header=BB2_399 Depth=1
	ds_write_b32 v0, v44
	s_trap 2
.LBB2_506:                              ;   in Loop: Header=BB2_399 Depth=1
	s_or_b64 exec, exec, s[62:63]
	;;#ASMSTART
	s_wakeup
	;;#ASMEND
.LBB2_507:                              ;   in Loop: Header=BB2_399 Depth=1
	s_or_b64 exec, exec, s[60:61]
.LBB2_508:                              ;   in Loop: Header=BB2_399 Depth=1
	s_andn2_saveexec_b64 s[58:59], s[58:59]
	s_cbranch_execz .LBB2_510
; %bb.509:                              ;   in Loop: Header=BB2_399 Depth=1
	s_waitcnt vmcnt(0) lgkmcnt(0)
	buffer_wbinvl1_vol
	s_barrier
.LBB2_510:                              ;   in Loop: Header=BB2_399 Depth=1
	s_or_b64 exec, exec, s[58:59]
.LBB2_511:                              ;   in Loop: Header=BB2_399 Depth=1
	s_or_b64 exec, exec, s[56:57]
	v_and_b32_e32 v2, 16, v53
	v_cmp_ne_u32_e32 vcc, 0, v2
	s_and_b64 s[56:57], vcc, s[20:21]
	s_and_saveexec_b64 s[20:21], s[56:57]
	s_cbranch_execz .LBB2_513
; %bb.512:                              ;   in Loop: Header=BB2_399 Depth=1
	s_waitcnt vmcnt(0) lgkmcnt(0)
	buffer_wbinvl1_vol
.LBB2_513:                              ;   in Loop: Header=BB2_399 Depth=1
	s_or_b64 exec, exec, s[20:21]
	v_cmp_ne_u32_e32 vcc, 0, v2
	s_and_saveexec_b64 s[20:21], vcc
	s_cbranch_execz .LBB2_517
; %bb.514:                              ;   in Loop: Header=BB2_399 Depth=1
	s_and_saveexec_b64 s[56:57], s[18:19]
	s_cbranch_execz .LBB2_516
; %bb.515:                              ;   in Loop: Header=BB2_399 Depth=1
	flat_store_dword v[24:25], v44
.LBB2_516:                              ;   in Loop: Header=BB2_399 Depth=1
	s_or_b64 exec, exec, s[56:57]
	v_add_co_u32_e32 v8, vcc, 1, v8
	v_addc_co_u32_e32 v9, vcc, 0, v9, vcc
	flat_store_dwordx2 v[18:19], v[8:9]
.LBB2_517:                              ;   in Loop: Header=BB2_399 Depth=1
	s_or_b64 exec, exec, s[20:21]
	v_mov_b32_e32 v2, v39
.LBB2_518:                              ;   in Loop: Header=BB2_399 Depth=1
	s_or_b64 exec, exec, s[46:47]
	s_and_saveexec_b64 s[46:47], s[44:45]
	s_cbranch_execz .LBB2_398
; %bb.519:                              ;   in Loop: Header=BB2_399 Depth=1
	v_sub_u32_e32 v2, v34, v2
	v_min_i32_e32 v34, v39, v2
	v_and_b32_e32 v2, 8, v53
	v_cmp_ne_u32_e32 vcc, 0, v2
	s_and_saveexec_b64 s[44:45], vcc
	s_cbranch_execz .LBB2_541
; %bb.520:                              ;   in Loop: Header=BB2_399 Depth=1
	s_waitcnt vmcnt(0)
	v_add_co_u32_e32 v2, vcc, 8, v22
	v_addc_co_u32_e32 v3, vcc, 0, v23, vcc
	v_add_co_u32_e32 v36, vcc, 1, v8
	v_addc_co_u32_e32 v37, vcc, 0, v9, vcc
	v_cmp_lt_u64_e32 vcc, v[2:3], v[36:37]
	s_and_saveexec_b64 s[56:57], vcc
	s_cbranch_execz .LBB2_532
; %bb.521:                              ;   in Loop: Header=BB2_399 Depth=1
	v_and_b32_e32 v2, 64, v53
	s_mov_b32 s92, 0
	v_cmp_eq_u32_e32 vcc, 0, v2
	s_mov_b64 s[58:59], 0
                                        ; implicit-def: $sgpr60_sgpr61
                                        ; implicit-def: $sgpr62_sgpr63
                                        ; implicit-def: $sgpr72_sgpr73
	s_branch .LBB2_525
.LBB2_522:                              ;   in Loop: Header=BB2_525 Depth=2
	s_waitcnt vmcnt(0) lgkmcnt(0)
	v_add_co_u32_e64 v14, s[20:21], 8, v22
	v_addc_co_u32_e64 v15, s[20:21], 0, v23, s[20:21]
	v_cmp_ge_u64_e64 s[20:21], v[14:15], v[36:37]
	s_or_b64 s[78:79], s[78:79], exec
	s_orn2_b64 s[76:77], s[20:21], exec
.LBB2_523:                              ;   in Loop: Header=BB2_525 Depth=2
	s_or_b64 exec, exec, s[90:91]
	s_andn2_b64 s[20:21], s[72:73], exec
	s_and_b64 s[72:73], s[78:79], exec
	s_or_b64 s[72:73], s[20:21], s[72:73]
	s_andn2_b64 s[20:21], s[62:63], exec
	s_and_b64 s[62:63], s[76:77], exec
	s_or_b64 s[62:63], s[20:21], s[62:63]
.LBB2_524:                              ;   in Loop: Header=BB2_525 Depth=2
	s_or_b64 exec, exec, s[74:75]
	s_and_b64 s[20:21], exec, s[62:63]
	s_or_b64 s[58:59], s[20:21], s[58:59]
	s_andn2_b64 s[20:21], s[60:61], exec
	s_and_b64 s[60:61], s[72:73], exec
	s_or_b64 s[60:61], s[20:21], s[60:61]
	s_andn2_b64 exec, exec, s[58:59]
	s_cbranch_execz .LBB2_529
.LBB2_525:                              ;   Parent Loop BB2_399 Depth=1
                                        ; =>  This Inner Loop Header: Depth=2
	s_sleep 1
	s_waitcnt vmcnt(0) lgkmcnt(0)
	flat_load_dwordx2 v[22:23], v[18:19] glc
	s_or_b64 s[72:73], s[72:73], exec
	s_or_b64 s[62:63], s[62:63], exec
                                        ; implicit-def: $vgpr2
	s_and_saveexec_b64 s[74:75], vcc
	s_cbranch_execz .LBB2_524
; %bb.526:                              ;   in Loop: Header=BB2_525 Depth=2
	s_cmpk_lt_i32 s92, 0x270f
	s_cselect_b64 s[88:89], -1, 0
	s_cmpk_gt_i32 s92, 0x270e
	s_mov_b64 s[76:77], -1
	s_cbranch_scc0 .LBB2_528
; %bb.527:                              ;   in Loop: Header=BB2_525 Depth=2
	s_trap 2
	ds_read_b64 v[2:3], v0
	s_andn2_b64 s[88:89], s[88:89], exec
	s_mov_b32 s92, 0
	s_mov_b64 s[78:79], 0
	s_waitcnt vmcnt(0) lgkmcnt(0)
	flat_load_dword v2, v[2:3] glc
	s_waitcnt vmcnt(0) lgkmcnt(0)
	buffer_wbinvl1_vol
	v_cmp_eq_u32_e64 s[20:21], 0, v2
	s_and_b64 s[20:21], s[20:21], exec
	s_or_b64 s[88:89], s[88:89], s[20:21]
	s_and_saveexec_b64 s[90:91], s[88:89]
	s_cbranch_execz .LBB2_523
	s_branch .LBB2_522
.LBB2_528:                              ;   in Loop: Header=BB2_525 Depth=2
	s_add_i32 s92, s92, 1
	s_mov_b64 s[78:79], -1
                                        ; implicit-def: $vgpr2
	s_and_saveexec_b64 s[90:91], s[88:89]
	s_cbranch_execz .LBB2_523
	s_branch .LBB2_522
.LBB2_529:                              ;   in Loop: Header=BB2_399 Depth=1
	s_or_b64 exec, exec, s[58:59]
	s_xor_b64 s[20:21], s[60:61], -1
	s_and_saveexec_b64 s[58:59], s[20:21]
	s_xor_b64 s[20:21], exec, s[58:59]
	s_cbranch_execz .LBB2_531
; %bb.530:                              ;   in Loop: Header=BB2_399 Depth=1
	v_or_b32_e32 v53, 64, v53
	s_waitcnt lgkmcnt(0)
	ds_write_b32 v0, v2
	s_trap 2
.LBB2_531:                              ;   in Loop: Header=BB2_399 Depth=1
	s_or_b64 exec, exec, s[20:21]
.LBB2_532:                              ;   in Loop: Header=BB2_399 Depth=1
	s_or_b64 exec, exec, s[56:57]
	v_and_b32_e32 v2, 0x100, v53
	v_cmp_ne_u32_e32 vcc, 0, v2
	v_and_b32_e32 v2, 7, v8
	s_mov_b64 s[20:21], -1
	;;#ASMSTART
	s_wakeup
	;;#ASMEND
                                        ; implicit-def: $vgpr8_vgpr9
	s_and_saveexec_b64 s[56:57], vcc
	s_cbranch_execz .LBB2_536
; %bb.533:                              ;   in Loop: Header=BB2_399 Depth=1
	v_mad_u64_u32 v[38:39], s[20:21], v2, 24, v[6:7]
	v_ashrrev_i32_e32 v35, 31, v34
	v_lshlrev_b64 v[8:9], 1, v[34:35]
	flat_load_dword v3, v[38:39]
	s_waitcnt vmcnt(0) lgkmcnt(0)
	v_cmp_ne_u32_e32 vcc, 1, v3
	v_cmp_eq_u32_e64 s[20:21], 1, v3
	flat_store_dwordx2 v[38:39], v[8:9] offset:8
                                        ; implicit-def: $vgpr8_vgpr9
	s_and_saveexec_b64 s[58:59], s[20:21]
	s_cbranch_execz .LBB2_535
; %bb.534:                              ;   in Loop: Header=BB2_399 Depth=1
	flat_load_dword v8, v[38:39] offset:4 glc
	s_waitcnt vmcnt(0) lgkmcnt(0)
	v_ashrrev_i32_e32 v9, 31, v8
	v_lshrrev_b64 v[8:9], 1, v[8:9]
.LBB2_535:                              ;   in Loop: Header=BB2_399 Depth=1
	s_or_b64 exec, exec, s[58:59]
	s_orn2_b64 s[20:21], vcc, exec
.LBB2_536:                              ;   in Loop: Header=BB2_399 Depth=1
	s_or_b64 exec, exec, s[56:57]
	s_and_saveexec_b64 s[56:57], s[20:21]
; %bb.537:                              ;   in Loop: Header=BB2_399 Depth=1
	v_mad_i64_i32 v[8:9], s[20:21], v2, v61, 0
; %bb.538:                              ;   in Loop: Header=BB2_399 Depth=1
	s_or_b64 exec, exec, s[56:57]
	v_lshlrev_b64 v[2:3], 1, v[8:9]
	v_add_co_u32_e32 v2, vcc, v20, v2
	v_addc_co_u32_e32 v3, vcc, v21, v3, vcc
	ds_write_b64 v0, v[2:3] offset:784
	v_and_b32_e32 v2, 0x2000, v53
	v_cmp_ne_u32_e32 vcc, 0, v2
	s_and_saveexec_b64 s[20:21], vcc
	s_cbranch_execz .LBB2_540
; %bb.539:                              ;   in Loop: Header=BB2_399 Depth=1
	ds_read_b64 v[2:3], v0 offset:872
	s_waitcnt lgkmcnt(0)
	v_add_co_u32_e32 v2, vcc, 1, v2
	v_addc_co_u32_e32 v3, vcc, 0, v3, vcc
	ds_write_b64 v0, v[2:3] offset:872
.LBB2_540:                              ;   in Loop: Header=BB2_399 Depth=1
	s_or_b64 exec, exec, s[20:21]
	v_mov_b32_e32 v8, v36
	v_mov_b32_e32 v9, v37
.LBB2_541:                              ;   in Loop: Header=BB2_399 Depth=1
	s_or_b64 exec, exec, s[44:45]
	s_and_saveexec_b64 s[20:21], s[10:11]
	s_cbranch_execz .LBB2_560
; %bb.542:                              ;   in Loop: Header=BB2_399 Depth=1
	s_and_saveexec_b64 s[44:45], s[28:29]
	s_xor_b64 s[44:45], exec, s[44:45]
	s_cbranch_execz .LBB2_557
; %bb.543:                              ;   in Loop: Header=BB2_399 Depth=1
	s_and_saveexec_b64 s[56:57], s[12:13]
	s_cbranch_execz .LBB2_556
; %bb.544:                              ;   in Loop: Header=BB2_399 Depth=1
	s_mov_b64 s[60:61], exec
	v_mbcnt_lo_u32_b32 v2, s60, 0
	v_mbcnt_hi_u32_b32 v2, s61, v2
	v_cmp_eq_u32_e32 vcc, 0, v2
	s_waitcnt vmcnt(0) lgkmcnt(0)
	buffer_wbinvl1_vol
	s_and_saveexec_b64 s[58:59], vcc
	s_cbranch_execz .LBB2_546
; %bb.545:                              ;   in Loop: Header=BB2_399 Depth=1
	s_bcnt1_i32_b64 s60, s[60:61]
	v_mov_b32_e32 v26, s60
	ds_add_u64 v0, v[26:27]
	s_trap 2
.LBB2_546:                              ;   in Loop: Header=BB2_399 Depth=1
	s_or_b64 exec, exec, s[58:59]
	s_trap 2
	ds_read_b64 v[2:3], v0
	s_waitcnt lgkmcnt(0)
	v_add_co_u32_e32 v10, vcc, v10, v30
	v_addc_co_u32_e32 v11, vcc, 0, v11, vcc
	v_cmp_lt_u64_e32 vcc, v[2:3], v[10:11]
	s_and_saveexec_b64 s[58:59], vcc
	s_cbranch_execz .LBB2_555
; %bb.547:                              ;   in Loop: Header=BB2_399 Depth=1
	s_mov_b32 s88, 0
	s_mov_b64 s[60:61], 0
                                        ; implicit-def: $sgpr62_sgpr63
                                        ; implicit-def: $sgpr72_sgpr73
	s_branch .LBB2_549
.LBB2_548:                              ;   in Loop: Header=BB2_549 Depth=2
	s_or_b64 exec, exec, s[76:77]
	s_and_b64 s[74:75], exec, s[78:79]
	s_or_b64 s[60:61], s[74:75], s[60:61]
	s_andn2_b64 s[62:63], s[62:63], exec
	s_and_b64 s[74:75], s[72:73], exec
	s_or_b64 s[62:63], s[62:63], s[74:75]
	s_andn2_b64 exec, exec, s[60:61]
	s_cbranch_execz .LBB2_553
.LBB2_549:                              ;   Parent Loop BB2_399 Depth=1
                                        ; =>  This Inner Loop Header: Depth=2
	s_add_i32 s88, s88, 1
	s_cmpk_lg_i32 s88, 0x2710
	s_cselect_b64 s[74:75], -1, 0
	s_and_b64 vcc, exec, s[74:75]
	s_cbranch_vccz .LBB2_551
; %bb.550:                              ;   in Loop: Header=BB2_549 Depth=2
	s_mov_b64 s[78:79], -1
	s_or_b64 s[72:73], s[72:73], exec
	s_and_saveexec_b64 s[76:77], s[74:75]
	s_cbranch_execz .LBB2_548
	s_branch .LBB2_552
.LBB2_551:                              ;   in Loop: Header=BB2_549 Depth=2
	s_trap 2
	ds_read_b64 v[2:3], v0
	s_andn2_b64 s[74:75], s[74:75], exec
	s_mov_b32 s88, 0
	s_waitcnt lgkmcnt(0)
	flat_load_dword v2, v[2:3] glc
	s_waitcnt vmcnt(0) lgkmcnt(0)
	buffer_wbinvl1_vol
	v_cmp_eq_u32_e32 vcc, 0, v2
	s_and_b64 s[76:77], vcc, exec
	s_or_b64 s[74:75], s[74:75], s[76:77]
	s_mov_b64 s[78:79], -1
	s_or_b64 s[72:73], s[72:73], exec
	s_and_saveexec_b64 s[76:77], s[74:75]
	s_cbranch_execz .LBB2_548
.LBB2_552:                              ;   in Loop: Header=BB2_549 Depth=2
	s_sleep 1
	s_trap 2
	ds_read_b64 v[2:3], v0
	s_waitcnt lgkmcnt(0)
	s_andn2_b64 s[72:73], s[72:73], exec
	v_cmp_ge_u64_e32 vcc, v[2:3], v[10:11]
	s_orn2_b64 s[78:79], vcc, exec
	s_branch .LBB2_548
.LBB2_553:                              ;   in Loop: Header=BB2_399 Depth=1
	s_or_b64 exec, exec, s[60:61]
	s_and_saveexec_b64 s[60:61], s[62:63]
	s_xor_b64 s[60:61], exec, s[60:61]
	s_cbranch_execz .LBB2_555
; %bb.554:                              ;   in Loop: Header=BB2_399 Depth=1
	ds_write_b32 v0, v44
	s_trap 2
.LBB2_555:                              ;   in Loop: Header=BB2_399 Depth=1
	s_or_b64 exec, exec, s[58:59]
	;;#ASMSTART
	s_wakeup
	;;#ASMEND
.LBB2_556:                              ;   in Loop: Header=BB2_399 Depth=1
	s_or_b64 exec, exec, s[56:57]
.LBB2_557:                              ;   in Loop: Header=BB2_399 Depth=1
	s_andn2_saveexec_b64 s[44:45], s[44:45]
	s_cbranch_execz .LBB2_559
; %bb.558:                              ;   in Loop: Header=BB2_399 Depth=1
	s_waitcnt vmcnt(0) lgkmcnt(0)
	buffer_wbinvl1_vol
	s_barrier
.LBB2_559:                              ;   in Loop: Header=BB2_399 Depth=1
	s_or_b64 exec, exec, s[44:45]
.LBB2_560:                              ;   in Loop: Header=BB2_399 Depth=1
	s_or_b64 exec, exec, s[20:21]
	s_trap 2
	ds_read_b32 v3, v0
	v_cmp_lt_i32_e32 vcc, 0, v34
	v_and_b32_e32 v2, 16, v53
	s_waitcnt lgkmcnt(0)
	v_readfirstlane_b32 s20, v3
	s_cmp_eq_u32 s20, 0
	s_cselect_b64 s[20:21], -1, 0
	s_and_b64 s[20:21], vcc, s[20:21]
	v_cmp_ne_u32_e32 vcc, 0, v2
	s_and_b64 s[44:45], vcc, s[20:21]
	s_and_saveexec_b64 s[20:21], s[44:45]
	s_cbranch_execz .LBB2_562
; %bb.561:                              ;   in Loop: Header=BB2_399 Depth=1
	s_waitcnt vmcnt(0)
	buffer_wbinvl1_vol
.LBB2_562:                              ;   in Loop: Header=BB2_399 Depth=1
	s_or_b64 exec, exec, s[20:21]
	v_cmp_ne_u32_e32 vcc, 0, v2
	s_and_saveexec_b64 s[20:21], vcc
	s_cbranch_execz .LBB2_397
; %bb.563:                              ;   in Loop: Header=BB2_399 Depth=1
	s_and_saveexec_b64 s[44:45], s[18:19]
	s_cbranch_execz .LBB2_396
; %bb.564:                              ;   in Loop: Header=BB2_399 Depth=1
	flat_store_dword v[24:25], v44
	s_branch .LBB2_396
.LBB2_565:
	s_or_b64 exec, exec, s[40:41]
	buffer_load_dword v14, off, s[0:3], s33 offset:60 ; 4-byte Folded Reload
	buffer_load_dword v15, off, s[0:3], s33 offset:64 ; 4-byte Folded Reload
.LBB2_566:
	s_or_b64 exec, exec, s[26:27]
.LBB2_567:
	s_or_b64 exec, exec, s[24:25]
	v_and_b32_e32 v0, 0x800, v53
	v_cmp_eq_u32_e32 vcc, 0, v0
	s_and_saveexec_b64 s[6:7], vcc
	s_cbranch_execz .LBB2_600
; %bb.568:
	v_and_b32_e32 v0, 48, v53
	v_cmp_ne_u32_e32 vcc, 0, v0
	s_and_saveexec_b64 s[4:5], vcc
	s_cbranch_execz .LBB2_570
; %bb.569:
	s_waitcnt vmcnt(0) lgkmcnt(0)
	flat_store_dwordx2 v[14:15], v[8:9] offset:104
.LBB2_570:
	s_or_b64 exec, exec, s[4:5]
	s_movk_i32 s4, 0x88
	v_and_b32_e32 v0, 0x88, v53
	v_cmp_eq_u32_e32 vcc, s4, v0
	s_and_saveexec_b64 s[10:11], vcc
	s_cbranch_execz .LBB2_580
; %bb.571:
	s_waitcnt lgkmcnt(0)
	v_add_u32_e32 v0, -1, v8
	v_and_b32_e32 v0, 7, v0
	v_mad_u64_u32 v[4:5], s[4:5], v0, 24, v[6:7]
	v_and_b32_e32 v0, 64, v53
	v_cmp_eq_u32_e64 s[4:5], 0, v0
	flat_load_dwordx2 v[2:3], v[4:5] offset:8 glc
	s_waitcnt vmcnt(0)
	s_mov_b32 s24, 0
	s_waitcnt lgkmcnt(0)
	v_cmp_ne_u64_e32 vcc, -1, v[2:3]
	s_and_b64 s[4:5], vcc, s[4:5]
	s_and_b64 exec, exec, s[4:5]
	s_cbranch_execz .LBB2_580
; %bb.572:
	s_mov_b64 s[4:5], 0
                                        ; implicit-def: $sgpr12_sgpr13
                                        ; implicit-def: $sgpr14_sgpr15
	s_branch .LBB2_575
.LBB2_573:                              ;   in Loop: Header=BB2_575 Depth=1
	flat_load_dwordx2 v[2:3], v[4:5] offset:8 glc
	s_waitcnt vmcnt(0)
	s_andn2_b64 s[14:15], s[14:15], exec
	s_waitcnt lgkmcnt(0)
	v_cmp_eq_u64_e32 vcc, -1, v[2:3]
	s_orn2_b64 s[18:19], vcc, exec
.LBB2_574:                              ;   in Loop: Header=BB2_575 Depth=1
	s_or_b64 exec, exec, s[20:21]
	s_and_b64 s[16:17], exec, s[18:19]
	s_or_b64 s[4:5], s[16:17], s[4:5]
	s_andn2_b64 s[12:13], s[12:13], exec
	s_and_b64 s[16:17], s[14:15], exec
	s_or_b64 s[12:13], s[12:13], s[16:17]
	s_andn2_b64 exec, exec, s[4:5]
	s_cbranch_execz .LBB2_578
.LBB2_575:                              ; =>This Inner Loop Header: Depth=1
	s_cmpk_lt_i32 s24, 0x270f
	s_cselect_b64 s[16:17], -1, 0
	s_and_b64 vcc, exec, s[16:17]
	s_cbranch_vccnz .LBB2_577
; %bb.576:                              ;   in Loop: Header=BB2_575 Depth=1
	s_trap 2
	ds_read_b64 v[2:3], v0
	s_andn2_b64 s[16:17], s[16:17], exec
	s_mov_b32 s24, 0
	s_waitcnt lgkmcnt(0)
	flat_load_dword v0, v[2:3] glc
	s_waitcnt vmcnt(0) lgkmcnt(0)
	buffer_wbinvl1_vol
	v_cmp_eq_u32_e32 vcc, 0, v0
	s_and_b64 s[18:19], vcc, exec
	s_or_b64 s[16:17], s[16:17], s[18:19]
	s_mov_b64 s[18:19], -1
	s_or_b64 s[14:15], s[14:15], exec
	s_and_saveexec_b64 s[20:21], s[16:17]
	s_cbranch_execz .LBB2_574
	s_branch .LBB2_573
.LBB2_577:                              ;   in Loop: Header=BB2_575 Depth=1
	s_add_i32 s24, s24, 1
                                        ; implicit-def: $vgpr0
	s_mov_b64 s[18:19], -1
	s_or_b64 s[14:15], s[14:15], exec
	s_and_saveexec_b64 s[20:21], s[16:17]
	s_cbranch_execz .LBB2_574
	s_branch .LBB2_573
.LBB2_578:
	s_or_b64 exec, exec, s[4:5]
	s_and_saveexec_b64 s[4:5], s[12:13]
	s_xor_b64 s[4:5], exec, s[4:5]
	s_cbranch_execz .LBB2_580
; %bb.579:
	ds_write_b32 v0, v0
	s_trap 2
.LBB2_580:
	s_or_b64 exec, exec, s[10:11]
	v_and_b32_e32 v0, 0x2000, v53
	v_cmp_ne_u32_e32 vcc, 0, v0
	s_and_saveexec_b64 s[4:5], vcc
	s_cbranch_execz .LBB2_582
; %bb.581:
	s_trap 2
	ds_read_b64 v[2:3], v0
	buffer_load_dword v4, off, s[0:3], s33 offset:76 ; 4-byte Folded Reload
	buffer_load_dword v5, off, s[0:3], s33 offset:80 ; 4-byte Folded Reload
	s_waitcnt vmcnt(0) lgkmcnt(0)
	flat_store_dwordx2 v[4:5], v[2:3] offset:16
.LBB2_582:
	s_or_b64 exec, exec, s[4:5]
	v_cmp_ne_u32_e32 vcc, 64, v1
	s_and_b64 exec, exec, vcc
	s_cbranch_execz .LBB2_600
; %bb.583:
	s_waitcnt vmcnt(0)
	v_cmp_ne_u32_sdwa s[4:5], v1, v62 src0_sel:DWORD src1_sel:WORD_0
	s_and_saveexec_b64 s[10:11], s[4:5]
	s_xor_b64 s[4:5], exec, s[10:11]
	s_cbranch_execz .LBB2_598
; %bb.584:
	v_and_b32_e32 v0, 63, v31
	v_cmp_eq_u32_e32 vcc, 0, v0
	s_and_saveexec_b64 s[10:11], vcc
	s_cbranch_execz .LBB2_597
; %bb.585:
	s_mov_b64 s[14:15], exec
	v_mbcnt_lo_u32_b32 v0, s14, 0
	v_mbcnt_hi_u32_b32 v0, s15, v0
	v_cmp_eq_u32_e32 vcc, 0, v0
	s_waitcnt lgkmcnt(0)
	buffer_wbinvl1_vol
	s_and_saveexec_b64 s[12:13], vcc
	s_cbranch_execz .LBB2_587
; %bb.586:
	s_bcnt1_i32_b64 s14, s[14:15]
	v_mov_b32_e32 v2, s14
	v_mov_b32_e32 v3, 0
	ds_add_u64 v0, v[2:3]
	s_trap 2
.LBB2_587:
	s_or_b64 exec, exec, s[12:13]
	v_lshrrev_b32_e32 v0, 6, v1
	s_trap 2
	ds_read_b64 v[2:3], v0
	s_waitcnt lgkmcnt(0)
	v_add_co_u32_e32 v0, vcc, v10, v0
	v_addc_co_u32_e32 v1, vcc, 0, v11, vcc
	v_cmp_lt_u64_e32 vcc, v[2:3], v[0:1]
	s_and_saveexec_b64 s[12:13], vcc
	s_cbranch_execz .LBB2_596
; %bb.588:
	s_mov_b32 s28, 0
	s_mov_b64 s[14:15], 0
                                        ; implicit-def: $sgpr16_sgpr17
                                        ; implicit-def: $sgpr18_sgpr19
	s_branch .LBB2_590
.LBB2_589:                              ;   in Loop: Header=BB2_590 Depth=1
	s_or_b64 exec, exec, s[24:25]
	s_and_b64 s[20:21], exec, s[26:27]
	s_or_b64 s[14:15], s[20:21], s[14:15]
	s_andn2_b64 s[16:17], s[16:17], exec
	s_and_b64 s[20:21], s[18:19], exec
	s_or_b64 s[16:17], s[16:17], s[20:21]
	s_andn2_b64 exec, exec, s[14:15]
	s_cbranch_execz .LBB2_594
.LBB2_590:                              ; =>This Inner Loop Header: Depth=1
	s_add_i32 s28, s28, 1
	s_cmpk_lg_i32 s28, 0x2710
	s_cselect_b64 s[20:21], -1, 0
	s_and_b64 vcc, exec, s[20:21]
	s_cbranch_vccz .LBB2_592
; %bb.591:                              ;   in Loop: Header=BB2_590 Depth=1
	s_mov_b64 s[26:27], -1
	s_or_b64 s[18:19], s[18:19], exec
	s_and_saveexec_b64 s[24:25], s[20:21]
	s_cbranch_execz .LBB2_589
	s_branch .LBB2_593
.LBB2_592:                              ;   in Loop: Header=BB2_590 Depth=1
	s_trap 2
	ds_read_b64 v[2:3], v0
	s_andn2_b64 s[20:21], s[20:21], exec
	s_mov_b32 s28, 0
	s_waitcnt lgkmcnt(0)
	flat_load_dword v2, v[2:3] glc
	s_waitcnt vmcnt(0) lgkmcnt(0)
	buffer_wbinvl1_vol
	v_cmp_eq_u32_e32 vcc, 0, v2
	s_and_b64 s[24:25], vcc, exec
	s_or_b64 s[20:21], s[20:21], s[24:25]
	s_mov_b64 s[26:27], -1
	s_or_b64 s[18:19], s[18:19], exec
	s_and_saveexec_b64 s[24:25], s[20:21]
	s_cbranch_execz .LBB2_589
.LBB2_593:                              ;   in Loop: Header=BB2_590 Depth=1
	s_sleep 1
	s_trap 2
	ds_read_b64 v[2:3], v0
	s_waitcnt lgkmcnt(0)
	s_andn2_b64 s[18:19], s[18:19], exec
	v_cmp_ge_u64_e32 vcc, v[2:3], v[0:1]
	s_orn2_b64 s[26:27], vcc, exec
	s_branch .LBB2_589
.LBB2_594:
	s_or_b64 exec, exec, s[14:15]
	s_and_saveexec_b64 s[14:15], s[16:17]
	s_xor_b64 s[14:15], exec, s[14:15]
	s_cbranch_execz .LBB2_596
; %bb.595:
	v_mov_b32_e32 v0, 1
	ds_write_b32 v0, v0
	s_trap 2
.LBB2_596:
	s_or_b64 exec, exec, s[12:13]
	;;#ASMSTART
	s_wakeup
	;;#ASMEND
.LBB2_597:
	s_or_b64 exec, exec, s[10:11]
.LBB2_598:
	s_andn2_saveexec_b64 s[4:5], s[4:5]
	s_cbranch_execz .LBB2_600
; %bb.599:
	s_waitcnt lgkmcnt(0)
	buffer_wbinvl1_vol
	s_barrier
.LBB2_600:
	s_or_b64 exec, exec, s[6:7]
.LBB2_601:
	s_andn2_saveexec_b64 s[26:27], s[22:23]
	s_cbranch_execz .LBB2_603
; %bb.602:
	s_getpc_b64 s[4:5]
	s_add_u32 s4, s4, __PRETTY_FUNCTION__._ZN10PrimitivesI6__half7FuncSumIS0_E12FanSymmetricILi1EELi0E11ProtoSimpleILi1ELi1ELi0ELi1ELi0ELi0EELi0ELb0ELi0ELi0ELi0EEC2EiiPKiS9_PKvPvmhhhP15ncclDevWorkCollP14ncclDevWorkP2pii@rel32@lo+4
	s_addc_u32 s5, s5, __PRETTY_FUNCTION__._ZN10PrimitivesI6__half7FuncSumIS0_E12FanSymmetricILi1EELi0E11ProtoSimpleILi1ELi1ELi0ELi1ELi0ELi0EELi0ELb0ELi0ELi0ELi0EEC2EiiPKiS9_PKvPvmhhhP15ncclDevWorkCollP14ncclDevWorkP2pii@rel32@hi+12
	s_getpc_b64 s[6:7]
	s_add_u32 s6, s6, __assert_fail@rel32@lo+4
	s_addc_u32 s7, s7, __assert_fail@rel32@hi+12
	v_mov_b32_e32 v0, s4
	v_mov_b32_e32 v1, s5
	s_swappc_b64 s[30:31], s[6:7]
	; divergent unreachable
.LBB2_603:
	s_or_b64 exec, exec, s[26:27]
	buffer_load_dword v62, off, s[0:3], s33 ; 4-byte Folded Reload
	buffer_load_dword v61, off, s[0:3], s33 offset:4 ; 4-byte Folded Reload
	buffer_load_dword v60, off, s[0:3], s33 offset:8 ; 4-byte Folded Reload
	;; [unrolled: 1-line block ×14, first 2 shown]
	v_readlane_b32 s30, v63, 2
	v_readlane_b32 s31, v63, 3
	;; [unrolled: 1-line block ×4, first 2 shown]
	s_mov_b32 s32, s33
	v_readlane_b32 s4, v63, 4
	s_or_saveexec_b64 s[6:7], -1
	buffer_load_dword v63, off, s[0:3], s33 offset:96 ; 4-byte Folded Reload
	s_mov_b64 exec, s[6:7]
	s_mov_b32 s33, s4
	s_waitcnt vmcnt(0) lgkmcnt(0)
	s_setpc_b64 s[30:31]
.Lfunc_end2:
	.size	_ZN12_GLOBAL__N_17runRingI6__half7FuncSumIS1_E11ProtoSimpleILi1ELi1ELi0ELi1ELi0ELi0EELi0ELi1ELi0EEEviiP15ncclDevWorkColl, .Lfunc_end2-_ZN12_GLOBAL__N_17runRingI6__half7FuncSumIS1_E11ProtoSimpleILi1ELi1ELi0ELi1ELi0ELi0EELi0ELi1ELi0EEEviiP15ncclDevWorkColl
                                        ; -- End function
	.set .L_ZN12_GLOBAL__N_17runRingI6__half7FuncSumIS1_E11ProtoSimpleILi1ELi1ELi0ELi1ELi0ELi0EELi0ELi1ELi0EEEviiP15ncclDevWorkColl.num_vgpr, max(64, .L__assert_fail.num_vgpr)
	.set .L_ZN12_GLOBAL__N_17runRingI6__half7FuncSumIS1_E11ProtoSimpleILi1ELi1ELi0ELi1ELi0ELi0EELi0ELi1ELi0EEEviiP15ncclDevWorkColl.num_agpr, max(0, .L__assert_fail.num_agpr)
	.set .L_ZN12_GLOBAL__N_17runRingI6__half7FuncSumIS1_E11ProtoSimpleILi1ELi1ELi0ELi1ELi0ELi0EELi0ELi1ELi0EEEviiP15ncclDevWorkColl.numbered_sgpr, max(96, .L__assert_fail.numbered_sgpr)
	.set .L_ZN12_GLOBAL__N_17runRingI6__half7FuncSumIS1_E11ProtoSimpleILi1ELi1ELi0ELi1ELi0ELi0EELi0ELi1ELi0EEEviiP15ncclDevWorkColl.num_named_barrier, max(0, .L__assert_fail.num_named_barrier)
	.set .L_ZN12_GLOBAL__N_17runRingI6__half7FuncSumIS1_E11ProtoSimpleILi1ELi1ELi0ELi1ELi0ELi0EELi0ELi1ELi0EEEviiP15ncclDevWorkColl.private_seg_size, 112+max(.L__assert_fail.private_seg_size)
	.set .L_ZN12_GLOBAL__N_17runRingI6__half7FuncSumIS1_E11ProtoSimpleILi1ELi1ELi0ELi1ELi0ELi0EELi0ELi1ELi0EEEviiP15ncclDevWorkColl.uses_vcc, or(1, .L__assert_fail.uses_vcc)
	.set .L_ZN12_GLOBAL__N_17runRingI6__half7FuncSumIS1_E11ProtoSimpleILi1ELi1ELi0ELi1ELi0ELi0EELi0ELi1ELi0EEEviiP15ncclDevWorkColl.uses_flat_scratch, or(0, .L__assert_fail.uses_flat_scratch)
	.set .L_ZN12_GLOBAL__N_17runRingI6__half7FuncSumIS1_E11ProtoSimpleILi1ELi1ELi0ELi1ELi0ELi0EELi0ELi1ELi0EEEviiP15ncclDevWorkColl.has_dyn_sized_stack, or(0, .L__assert_fail.has_dyn_sized_stack)
	.set .L_ZN12_GLOBAL__N_17runRingI6__half7FuncSumIS1_E11ProtoSimpleILi1ELi1ELi0ELi1ELi0ELi0EELi0ELi1ELi0EEEviiP15ncclDevWorkColl.has_recursion, or(1, .L__assert_fail.has_recursion)
	.set .L_ZN12_GLOBAL__N_17runRingI6__half7FuncSumIS1_E11ProtoSimpleILi1ELi1ELi0ELi1ELi0ELi0EELi0ELi1ELi0EEEviiP15ncclDevWorkColl.has_indirect_call, or(0, .L__assert_fail.has_indirect_call)
	.section	.AMDGPU.csdata,"",@progbits
; Function info:
; codeLenInByte = 17912
; TotalNumSgprs: 100
; NumVgprs: 64
; ScratchSize: 176
; MemoryBound: 1
	.text
	.p2align	2                               ; -- Begin function _Z44ncclDevFunc_Reduce_RING_SIMPLE_Sum_f16_0_0_1v
	.type	_Z44ncclDevFunc_Reduce_RING_SIMPLE_Sum_f16_0_0_1v,@function
_Z44ncclDevFunc_Reduce_RING_SIMPLE_Sum_f16_0_0_1v: ; @_Z44ncclDevFunc_Reduce_RING_SIMPLE_Sum_f16_0_0_1v
; %bb.0:
	s_waitcnt vmcnt(0) expcnt(0) lgkmcnt(0)
	s_mov_b32 s4, s33
	s_mov_b32 s33, s32
	s_or_saveexec_b64 s[6:7], -1
	buffer_store_dword v43, off, s[0:3], s33 offset:16 ; 4-byte Folded Spill
	s_mov_b64 exec, s[6:7]
	v_writelane_b32 v43, s4, 10
	s_addk_i32 s32, 0x800
	buffer_store_dword v40, off, s[0:3], s33 offset:12 ; 4-byte Folded Spill
	buffer_store_dword v41, off, s[0:3], s33 offset:8 ; 4-byte Folded Spill
	;; [unrolled: 1-line block ×3, first 2 shown]
	buffer_store_dword v63, off, s[0:3], s33 ; 4-byte Folded Spill
	v_writelane_b32 v43, s34, 0
	v_writelane_b32 v43, s35, 1
	;; [unrolled: 1-line block ×10, first 2 shown]
	s_trap 2
	ds_read_b32 v0, v0
	v_mov_b32_e32 v40, v31
	s_mov_b32 s38, s12
	s_mov_b64 s[36:37], s[8:9]
	s_waitcnt lgkmcnt(0)
	v_cmp_gt_i32_e32 vcc, 1, v0
	s_cbranch_vccnz .LBB3_8
; %bb.1:
	s_mov_b32 s39, 0
	v_and_b32_e32 v41, 0x3ff, v40
	v_mov_b32_e32 v42, 6
	s_branch .LBB3_3
.LBB3_2:                                ;   in Loop: Header=BB3_3 Depth=1
	s_or_b64 exec, exec, s[48:49]
	s_trap 2
	ds_read_b32 v0, v0
	s_add_i32 s39, s39, 1
	s_waitcnt lgkmcnt(0)
	v_cmp_lt_i32_e32 vcc, s39, v0
	s_cbranch_vccz .LBB3_8
.LBB3_3:                                ; =>This Inner Loop Header: Depth=1
	s_trap 2
	ds_read_b32 v0, v0
	s_cmp_eq_u32 s39, 0
	s_cbranch_scc1 .LBB3_6
; %bb.4:                                ;   in Loop: Header=BB3_3 Depth=1
	s_trap 2
	s_waitcnt lgkmcnt(0)
	ds_read_b32 v1, v0
	s_waitcnt lgkmcnt(0)
	v_xor_b32_e32 v1, v1, v0
	v_and_b32_e32 v1, 0xff0000, v1
	v_cmp_eq_u32_e32 vcc, 0, v1
	s_cbranch_vccnz .LBB3_6
; %bb.5:                                ;   in Loop: Header=BB3_3 Depth=1
	s_waitcnt vmcnt(0)
	s_barrier
	ds_read_b32 v0, v0
.LBB3_6:                                ;   in Loop: Header=BB3_3 Depth=1
	s_waitcnt lgkmcnt(0)
	v_lshlrev_b32_sdwa v1, v42, v0 dst_sel:DWORD dst_unused:UNUSED_PAD src0_sel:DWORD src1_sel:BYTE_2
	v_cmp_lt_u32_e32 vcc, v41, v1
	s_and_saveexec_b64 s[48:49], vcc
	s_cbranch_execz .LBB3_2
; %bb.7:                                ;   in Loop: Header=BB3_3 Depth=1
	s_mov_b64 s[4:5], src_shared_base
	s_getpc_b64 s[6:7]
	s_add_u32 s6, s6, _ZN12_GLOBAL__N_17runRingI6__half7FuncSumIS1_E11ProtoSimpleILi1ELi1ELi0ELi1ELi0ELi0EELi0ELi1ELi0EEEviiP15ncclDevWorkColl@rel32@lo+4
	s_addc_u32 s7, s7, _ZN12_GLOBAL__N_17runRingI6__half7FuncSumIS1_E11ProtoSimpleILi1ELi1ELi0ELi1ELi0ELi0EELi0ELi1ELi0EEEviiP15ncclDevWorkColl@rel32@hi+12
	s_mov_b64 s[8:9], s[36:37]
	s_mov_b32 s12, s38
	v_mov_b32_e32 v31, v40
	v_mov_b32_e32 v0, v41
	;; [unrolled: 1-line block ×3, first 2 shown]
	s_swappc_b64 s[30:31], s[6:7]
	s_branch .LBB3_2
.LBB3_8:
	buffer_load_dword v63, off, s[0:3], s33 ; 4-byte Folded Reload
	buffer_load_dword v42, off, s[0:3], s33 offset:4 ; 4-byte Folded Reload
	buffer_load_dword v41, off, s[0:3], s33 offset:8 ; 4-byte Folded Reload
	;; [unrolled: 1-line block ×3, first 2 shown]
	v_readlane_b32 s30, v43, 8
	v_readlane_b32 s31, v43, 9
	;; [unrolled: 1-line block ×10, first 2 shown]
	s_mov_b32 s32, s33
	v_readlane_b32 s4, v43, 10
	s_or_saveexec_b64 s[6:7], -1
	buffer_load_dword v43, off, s[0:3], s33 offset:16 ; 4-byte Folded Reload
	s_mov_b64 exec, s[6:7]
	s_mov_b32 s33, s4
	s_waitcnt vmcnt(0)
	s_setpc_b64 s[30:31]
.Lfunc_end3:
	.size	_Z44ncclDevFunc_Reduce_RING_SIMPLE_Sum_f16_0_0_1v, .Lfunc_end3-_Z44ncclDevFunc_Reduce_RING_SIMPLE_Sum_f16_0_0_1v
                                        ; -- End function
	.set .L_Z44ncclDevFunc_Reduce_RING_SIMPLE_Sum_f16_0_0_1v.num_vgpr, max(64, .L_ZN12_GLOBAL__N_17runRingI6__half7FuncSumIS1_E11ProtoSimpleILi1ELi1ELi0ELi1ELi0ELi0EELi0ELi1ELi0EEEviiP15ncclDevWorkColl.num_vgpr)
	.set .L_Z44ncclDevFunc_Reduce_RING_SIMPLE_Sum_f16_0_0_1v.num_agpr, max(0, .L_ZN12_GLOBAL__N_17runRingI6__half7FuncSumIS1_E11ProtoSimpleILi1ELi1ELi0ELi1ELi0ELi0EELi0ELi1ELi0EEEviiP15ncclDevWorkColl.num_agpr)
	.set .L_Z44ncclDevFunc_Reduce_RING_SIMPLE_Sum_f16_0_0_1v.numbered_sgpr, max(50, .L_ZN12_GLOBAL__N_17runRingI6__half7FuncSumIS1_E11ProtoSimpleILi1ELi1ELi0ELi1ELi0ELi0EELi0ELi1ELi0EEEviiP15ncclDevWorkColl.numbered_sgpr)
	.set .L_Z44ncclDevFunc_Reduce_RING_SIMPLE_Sum_f16_0_0_1v.num_named_barrier, max(0, .L_ZN12_GLOBAL__N_17runRingI6__half7FuncSumIS1_E11ProtoSimpleILi1ELi1ELi0ELi1ELi0ELi0EELi0ELi1ELi0EEEviiP15ncclDevWorkColl.num_named_barrier)
	.set .L_Z44ncclDevFunc_Reduce_RING_SIMPLE_Sum_f16_0_0_1v.private_seg_size, 32+max(.L_ZN12_GLOBAL__N_17runRingI6__half7FuncSumIS1_E11ProtoSimpleILi1ELi1ELi0ELi1ELi0ELi0EELi0ELi1ELi0EEEviiP15ncclDevWorkColl.private_seg_size)
	.set .L_Z44ncclDevFunc_Reduce_RING_SIMPLE_Sum_f16_0_0_1v.uses_vcc, or(1, .L_ZN12_GLOBAL__N_17runRingI6__half7FuncSumIS1_E11ProtoSimpleILi1ELi1ELi0ELi1ELi0ELi0EELi0ELi1ELi0EEEviiP15ncclDevWorkColl.uses_vcc)
	.set .L_Z44ncclDevFunc_Reduce_RING_SIMPLE_Sum_f16_0_0_1v.uses_flat_scratch, or(0, .L_ZN12_GLOBAL__N_17runRingI6__half7FuncSumIS1_E11ProtoSimpleILi1ELi1ELi0ELi1ELi0ELi0EELi0ELi1ELi0EEEviiP15ncclDevWorkColl.uses_flat_scratch)
	.set .L_Z44ncclDevFunc_Reduce_RING_SIMPLE_Sum_f16_0_0_1v.has_dyn_sized_stack, or(0, .L_ZN12_GLOBAL__N_17runRingI6__half7FuncSumIS1_E11ProtoSimpleILi1ELi1ELi0ELi1ELi0ELi0EELi0ELi1ELi0EEEviiP15ncclDevWorkColl.has_dyn_sized_stack)
	.set .L_Z44ncclDevFunc_Reduce_RING_SIMPLE_Sum_f16_0_0_1v.has_recursion, or(1, .L_ZN12_GLOBAL__N_17runRingI6__half7FuncSumIS1_E11ProtoSimpleILi1ELi1ELi0ELi1ELi0ELi0EELi0ELi1ELi0EEEviiP15ncclDevWorkColl.has_recursion)
	.set .L_Z44ncclDevFunc_Reduce_RING_SIMPLE_Sum_f16_0_0_1v.has_indirect_call, or(0, .L_ZN12_GLOBAL__N_17runRingI6__half7FuncSumIS1_E11ProtoSimpleILi1ELi1ELi0ELi1ELi0ELi0EELi0ELi1ELi0EEEviiP15ncclDevWorkColl.has_indirect_call)
	.section	.AMDGPU.csdata,"",@progbits
; Function info:
; codeLenInByte = 544
; TotalNumSgprs: 100
; NumVgprs: 64
; ScratchSize: 208
; MemoryBound: 0
	.text
	.p2align	2                               ; -- Begin function _ZN12_GLOBAL__N_17runRingI6__half7FuncSumIS1_E11ProtoSimpleILi1ELi1ELi0ELi2ELi0ELi0EELi0ELi2ELi0EEEviiP15ncclDevWorkColl
	.type	_ZN12_GLOBAL__N_17runRingI6__half7FuncSumIS1_E11ProtoSimpleILi1ELi1ELi0ELi2ELi0ELi0EELi0ELi2ELi0EEEviiP15ncclDevWorkColl,@function
_ZN12_GLOBAL__N_17runRingI6__half7FuncSumIS1_E11ProtoSimpleILi1ELi1ELi0ELi2ELi0ELi0EELi0ELi2ELi0EEEviiP15ncclDevWorkColl: ; @_ZN12_GLOBAL__N_17runRingI6__half7FuncSumIS1_E11ProtoSimpleILi1ELi1ELi0ELi2ELi0ELi0EELi0ELi2ELi0EEEviiP15ncclDevWorkColl
; %bb.0:
	s_waitcnt vmcnt(0) expcnt(0) lgkmcnt(0)
	s_mov_b32 s4, s33
	s_mov_b32 s33, s32
	s_or_saveexec_b64 s[6:7], -1
	buffer_store_dword v63, off, s[0:3], s33 offset:132 ; 4-byte Folded Spill
	s_mov_b64 exec, s[6:7]
	v_writelane_b32 v63, s4, 11
	s_addk_i32 s32, 0x2400
	buffer_store_dword v40, off, s[0:3], s33 offset:56 ; 4-byte Folded Spill
	buffer_store_dword v41, off, s[0:3], s33 offset:52 ; 4-byte Folded Spill
	;; [unrolled: 1-line block ×14, first 2 shown]
	buffer_store_dword v62, off, s[0:3], s33 ; 4-byte Folded Spill
	v_writelane_b32 v63, s34, 0
	v_writelane_b32 v63, s35, 1
	v_writelane_b32 v63, s36, 2
	v_writelane_b32 v63, s37, 3
	v_writelane_b32 v63, s38, 4
	v_writelane_b32 v63, s39, 5
	v_writelane_b32 v63, s48, 6
	v_writelane_b32 v63, s49, 7
	v_writelane_b32 v63, s50, 8
	v_writelane_b32 v63, s30, 9
	v_writelane_b32 v63, s31, 10
	s_trap 2
	ds_read_b64 v[26:27], v0
	ds_read_b32 v6, v0
	v_mov_b32_e32 v14, v1
	v_mov_b32_e32 v54, v0
	flat_load_ushort v28, v[2:3] offset:8
	flat_load_dwordx2 v[8:9], v[2:3]
	s_waitcnt lgkmcnt(0)
	v_ashrrev_i32_e32 v1, 31, v27
	v_mov_b32_e32 v0, v27
	v_lshlrev_b64 v[0:1], 2, v[0:1]
                                        ; implicit-def: $vgpr29_vgpr30
                                        ; implicit-def: $vgpr4_vgpr5
                                        ; implicit-def: $vgpr40_vgpr41
	v_add_co_u32_e32 v0, vcc, v26, v0
	v_addc_co_u32_e32 v1, vcc, v27, v1, vcc
	v_add_co_u32_e32 v0, vcc, -4, v0
	v_addc_co_u32_e32 v1, vcc, -1, v1, vcc
	flat_load_dword v37, v[0:1]
	s_waitcnt vmcnt(0)
	v_mov_b32_e32 v27, v9
	v_cmp_ne_u32_sdwa s[4:5], v6, v8 src0_sel:DWORD src1_sel:BYTE_0
	s_and_saveexec_b64 s[6:7], s[4:5]
	s_xor_b64 s[4:5], exec, s[6:7]
	s_cbranch_execz .LBB4_6
; %bb.1:
	v_not_b32_sdwa v9, v8 dst_sel:DWORD dst_unused:UNUSED_PAD src0_sel:BYTE_0
	v_cmp_ne_u32_sdwa s[6:7], v6, v8 src0_sel:DWORD src1_sel:BYTE_1
                                        ; implicit-def: $vgpr29_vgpr30
                                        ; implicit-def: $vgpr4_vgpr5
                                        ; implicit-def: $vgpr40_vgpr41
	s_and_saveexec_b64 s[10:11], s[6:7]
	s_xor_b64 s[6:7], exec, s[10:11]
	s_cbranch_execz .LBB4_3
; %bb.2:
	flat_load_dwordx4 v[10:13], v[2:3] offset:72
	flat_load_dwordx2 v[0:1], v[2:3] offset:96
	v_add_u32_e32 v4, v6, v9
	v_ashrrev_i32_e32 v5, 31, v4
                                        ; implicit-def: $vgpr8
                                        ; implicit-def: $vgpr9
	s_waitcnt vmcnt(0) lgkmcnt(0)
	v_mul_lo_u32 v5, v12, v5
	v_mad_u64_u32 v[40:41], s[10:11], v12, v4, v[10:11]
	v_mul_lo_u32 v4, v13, v4
	v_lshrrev_b64 v[29:30], 13, v[0:1]
	v_add3_u32 v41, v4, v41, v5
	v_mov_b32_e32 v4, v12
	v_mov_b32_e32 v5, v13
.LBB4_3:
	s_andn2_saveexec_b64 s[6:7], s[6:7]
	s_cbranch_execz .LBB4_5
; %bb.4:
	flat_load_dwordx4 v[10:13], v[2:3] offset:72
	flat_load_dwordx4 v[4:7], v[2:3] offset:88
	v_add_u32_sdwa v0, v8, v9 dst_sel:DWORD dst_unused:UNUSED_PAD src0_sel:BYTE_1 src1_sel:DWORD
	v_ashrrev_i32_e32 v1, 31, v0
	s_waitcnt vmcnt(0) lgkmcnt(0)
	v_mul_lo_u32 v1, v12, v1
	v_mad_u64_u32 v[40:41], s[10:11], v12, v0, v[10:11]
	v_mul_lo_u32 v0, v13, v0
	v_lshrrev_b32_e32 v29, 2, v7
	v_add3_u32 v41, v0, v41, v1
.LBB4_5:
	s_or_b64 exec, exec, s[6:7]
.LBB4_6:
	s_andn2_saveexec_b64 s[4:5], s[4:5]
	s_cbranch_execz .LBB4_8
; %bb.7:
	flat_load_dwordx2 v[0:1], v[2:3] offset:96
	flat_load_dwordx2 v[4:5], v[2:3] offset:72
	v_mov_b32_e32 v40, 0
	v_mov_b32_e32 v41, 0
	s_waitcnt vmcnt(0) lgkmcnt(0)
	v_lshlrev_b64 v[29:30], 8, v[0:1]
.LBB4_8:
	s_or_b64 exec, exec, s[4:5]
	s_trap 2
	ds_read_b64 v[0:1], v0
	s_waitcnt lgkmcnt(0)
	v_cmp_ne_u32_e32 vcc, -1, v0
	v_cndmask_b32_e64 v36, 0, 1, vcc
	v_cmp_ne_u32_e32 vcc, -1, v1
	v_addc_co_u32_e64 v6, s[4:5], 0, v36, vcc
	v_lshlrev_b32_e32 v0, 1, v6
	v_cmp_le_u32_e64 s[4:5], v0, v14
	s_and_saveexec_b64 s[6:7], s[4:5]
	s_xor_b64 s[22:23], exec, s[6:7]
	s_cbranch_execz .LBB4_605
; %bb.9:
	flat_load_dwordx4 v[10:13], v[2:3] offset:16
	flat_load_dwordx2 v[32:33], v[2:3] offset:104
	s_trap 2
	s_load_dword s4, s[8:9], 0x0
	v_mov_b32_e32 v0, 0
	v_mov_b32_e32 v53, 4
	s_waitcnt lgkmcnt(0)
	s_cmp_lt_u32 s12, s4
	s_cselect_b32 s4, 12, 18
	s_add_u32 s4, s8, s4
	s_addc_u32 s5, s9, 0
	global_load_ushort v15, v0, s[4:5]
	ds_read_b32 v0, v0
	v_cmp_ge_i32_e64 s[4:5], v54, v36
	s_waitcnt lgkmcnt(0)
	v_readfirstlane_b32 s12, v0
	s_and_saveexec_b64 s[6:7], s[4:5]
	s_cbranch_execz .LBB4_19
; %bb.10:
	v_cmp_ge_u32_e64 s[4:5], v54, v6
                                        ; implicit-def: $vgpr53
	s_and_saveexec_b64 s[10:11], s[4:5]
	s_xor_b64 s[4:5], exec, s[10:11]
	s_cbranch_execz .LBB4_16
; %bb.11:
	v_cndmask_b32_e64 v0, 0, 1, vcc
	v_sub_u32_e32 v0, v14, v0
	v_cmp_ge_u32_e32 vcc, v54, v0
	s_and_saveexec_b64 s[10:11], vcc
	s_xor_b64 s[10:11], exec, s[10:11]
; %bb.12:
                                        ; implicit-def: $vgpr6
; %bb.13:
	s_or_saveexec_b64 s[10:11], s[10:11]
	v_mov_b32_e32 v53, 16
	s_xor_b64 exec, exec, s[10:11]
; %bb.14:
	v_sub_u32_e32 v0, v14, v6
	v_cmp_lt_i32_e32 vcc, v54, v0
	v_cndmask_b32_e64 v53, 32, 0, vcc
; %bb.15:
	s_or_b64 exec, exec, s[10:11]
.LBB4_16:
	s_andn2_saveexec_b64 s[4:5], s[4:5]
; %bb.17:
	v_mov_b32_e32 v53, 8
; %bb.18:
	s_or_b64 exec, exec, s[4:5]
.LBB4_19:
	s_or_b64 exec, exec, s[6:7]
	v_and_b32_e32 v0, 36, v53
	v_cmp_ne_u32_e32 vcc, 0, v0
	v_mov_b32_e32 v34, -1
	s_and_saveexec_b64 s[4:5], vcc
	s_cbranch_execz .LBB4_21
; %bb.20:
	s_trap 2
	ds_read_b32 v34, v0
.LBB4_21:
	s_or_b64 exec, exec, s[4:5]
	v_and_b32_e32 v0, 24, v53
	v_cmp_ne_u32_e64 s[4:5], 0, v0
	s_and_saveexec_b64 s[6:7], s[4:5]
	s_cbranch_execz .LBB4_23
; %bb.22:
	s_trap 2
	s_waitcnt lgkmcnt(0)
	ds_read_b32 v34, v0
.LBB4_23:
	s_or_b64 exec, exec, s[6:7]
	v_lshrrev_b64 v[0:1], 31, v[27:28]
	v_mov_b32_e32 v16, 0
	v_and_b32_e32 v28, 3, v0
	v_mov_b32_e32 v6, 0
                                        ; implicit-def: $vgpr0_vgpr1
	v_mov_b32_e32 v17, 0
	v_mov_b32_e32 v7, 0
	s_waitcnt lgkmcnt(0)
	v_ashrrev_i32_e32 v35, 31, v34
                                        ; kill: killed $vgpr0_vgpr1
                                        ; implicit-def: $vgpr0
                                        ; kill: killed $vgpr0
                                        ; implicit-def: $vgpr22_vgpr23
                                        ; implicit-def: $vgpr0_vgpr1
                                        ; kill: killed $vgpr0_vgpr1
                                        ; implicit-def: $vgpr18_vgpr19
	s_and_saveexec_b64 s[4:5], vcc
	s_cbranch_execz .LBB4_33
; %bb.24:
	s_trap 2
	ds_read_b64 v[0:1], v0
	v_lshlrev_b64 v[2:3], 3, v[34:35]
	s_movk_i32 s6, 0xa8
	s_waitcnt lgkmcnt(0)
	v_add_co_u32_e32 v0, vcc, v0, v2
	v_addc_co_u32_e32 v1, vcc, v1, v3, vcc
	flat_load_dwordx2 v[0:1], v[0:1]
	v_and_b32_e32 v2, 0xffff, v28
	s_waitcnt vmcnt(0) lgkmcnt(0)
	v_mad_u64_u32 v[24:25], s[6:7], v2, s6, v[0:1]
	flat_load_dword v0, v[24:25] offset:640
	s_waitcnt vmcnt(0) lgkmcnt(0)
	v_cmp_eq_u32_e32 vcc, 1, v0
                                        ; implicit-def: $vgpr0_vgpr1
                                        ; kill: killed $vgpr0_vgpr1
	s_and_saveexec_b64 s[6:7], vcc
	s_cbranch_execz .LBB4_26
; %bb.25:
	flat_load_dwordx2 v[2:3], v[24:25] offset:648
	v_or_b32_e32 v53, 0x2000, v53
	s_waitcnt vmcnt(0) lgkmcnt(0)
	flat_load_dwordx2 v[0:1], v[2:3]
	s_trap 2
	s_waitcnt vmcnt(0) lgkmcnt(0)
	ds_write_b64 v0, v[0:1]
	flat_load_dwordx2 v[0:1], v[2:3] offset:8
	s_waitcnt vmcnt(0) lgkmcnt(0)
	ds_write_b64 v0, v[0:1]
	buffer_store_dword v2, off, s[0:3], s33 offset:100 ; 4-byte Folded Spill
	s_nop 0
	buffer_store_dword v3, off, s[0:3], s33 offset:104 ; 4-byte Folded Spill
	flat_load_dwordx2 v[0:1], v[2:3] offset:16
	s_waitcnt vmcnt(0) lgkmcnt(0)
	ds_write_b64 v0, v[0:1]
.LBB4_26:
	s_or_b64 exec, exec, s[6:7]
	flat_load_dwordx2 v[8:9], v[24:25] offset:608
	v_and_b32_e32 v0, 32, v53
	v_cmp_ne_u32_e32 vcc, 0, v0
                                        ; implicit-def: $vgpr18_vgpr19
	s_and_saveexec_b64 s[6:7], vcc
	s_cbranch_execz .LBB4_28
; %bb.27:
	flat_load_dwordx2 v[18:19], v[24:25] offset:560
	s_waitcnt vmcnt(0) lgkmcnt(0)
	flat_store_dwordx2 v[18:19], v[8:9]
.LBB4_28:
	s_or_b64 exec, exec, s[6:7]
	v_add_co_u32_e32 v16, vcc, 0x1f8, v24
	v_addc_co_u32_e32 v17, vcc, 0, v25, vcc
	v_and_b32_e32 v0, 4, v53
	v_mov_b32_e32 v6, 0
	v_mov_b32_e32 v7, 0
	v_cmp_ne_u32_e32 vcc, 0, v0
                                        ; implicit-def: $vgpr0
                                        ; kill: killed $vgpr0
                                        ; implicit-def: $vgpr22_vgpr23
                                        ; implicit-def: $vgpr0_vgpr1
                                        ; kill: killed $vgpr0_vgpr1
	s_and_saveexec_b64 s[6:7], vcc
	s_cbranch_execz .LBB4_32
; %bb.29:
	v_and_b32_e32 v0, 0x800, v53
	v_cmp_eq_u32_e32 vcc, 0, v0
	s_and_saveexec_b64 s[10:11], vcc
	s_cbranch_execz .LBB4_31
; %bb.30:
	s_trap 2
	ds_write_b64 v0, v[16:17]
.LBB4_31:
	s_or_b64 exec, exec, s[10:11]
	flat_load_dwordx2 v[18:19], v[24:25] offset:552
	s_waitcnt vmcnt(0) lgkmcnt(0)
	flat_load_dwordx2 v[22:23], v[18:19] glc
	flat_load_dword v0, v[24:25] offset:576
	flat_load_dwordx2 v[6:7], v[24:25] offset:600
	flat_load_dwordx2 v[1:2], v[24:25] offset:520
	s_waitcnt vmcnt(0) lgkmcnt(0)
	buffer_store_dword v1, off, s[0:3], s33 offset:60 ; 4-byte Folded Spill
	s_nop 0
	buffer_store_dword v2, off, s[0:3], s33 offset:64 ; 4-byte Folded Spill
	v_cmp_eq_u64_e32 vcc, 0, v[6:7]
	v_or_b32_e32 v1, 0x100, v53
	v_ashrrev_i32_e32 v0, 1, v0
	v_cndmask_b32_e32 v53, v1, v53, vcc
	buffer_store_dword v0, off, s[0:3], s33 offset:68 ; 4-byte Folded Spill
.LBB4_32:
	s_or_b64 exec, exec, s[6:7]
.LBB4_33:
	s_or_b64 exec, exec, s[4:5]
	v_and_b32_e32 v0, 24, v53
	v_cmp_ne_u32_e32 vcc, 0, v0
                                        ; implicit-def: $vgpr0_vgpr1
                                        ; kill: killed $vgpr0_vgpr1
	s_and_saveexec_b64 s[4:5], vcc
	s_cbranch_execz .LBB4_41
; %bb.34:
	s_trap 2
	ds_read_b64 v[0:1], v0
	v_lshlrev_b64 v[2:3], 3, v[34:35]
	s_movk_i32 s6, 0xa8
	s_waitcnt lgkmcnt(0)
	v_add_co_u32_e32 v0, vcc, v0, v2
	v_addc_co_u32_e32 v1, vcc, v1, v3, vcc
	flat_load_dwordx2 v[0:1], v[0:1]
	v_and_b32_e32 v2, 0xffff, v28
	s_waitcnt vmcnt(0) lgkmcnt(0)
	v_mad_u64_u32 v[16:17], s[6:7], v2, s6, v[0:1]
	v_or_b32_e32 v0, 0x100, v53
	flat_load_dwordx4 v[6:9], v[16:17] offset:96
	s_waitcnt vmcnt(0) lgkmcnt(0)
	v_cmp_eq_u64_e32 vcc, 0, v[6:7]
	v_cndmask_b32_e32 v53, v0, v53, vcc
	v_and_b32_e32 v0, 16, v53
	v_cmp_ne_u32_e32 vcc, 0, v0
                                        ; implicit-def: $vgpr0_vgpr1
                                        ; kill: killed $vgpr0_vgpr1
	s_and_saveexec_b64 s[6:7], vcc
	s_cbranch_execz .LBB4_36
; %bb.35:
	flat_load_dwordx2 v[18:19], v[16:17] offset:48
	flat_load_dwordx2 v[0:1], v[16:17] offset:120
	s_waitcnt vmcnt(0) lgkmcnt(0)
	buffer_store_dword v0, off, s[0:3], s33 offset:72 ; 4-byte Folded Spill
	s_nop 0
	buffer_store_dword v1, off, s[0:3], s33 offset:76 ; 4-byte Folded Spill
	flat_load_dwordx2 v[0:1], v[16:17] offset:16
	s_waitcnt vmcnt(0) lgkmcnt(0)
	buffer_store_dword v0, off, s[0:3], s33 offset:60 ; 4-byte Folded Spill
	s_nop 0
	buffer_store_dword v1, off, s[0:3], s33 offset:64 ; 4-byte Folded Spill
.LBB4_36:
	s_or_b64 exec, exec, s[6:7]
	v_and_b32_e32 v0, 8, v53
	v_cmp_ne_u32_e32 vcc, 0, v0
	s_and_saveexec_b64 s[6:7], vcc
	s_cbranch_execz .LBB4_40
; %bb.37:
	v_and_b32_e32 v0, 0x800, v53
	v_cmp_eq_u32_e32 vcc, 0, v0
	s_and_saveexec_b64 s[10:11], vcc
	s_cbranch_execz .LBB4_39
; %bb.38:
	s_trap 2
	ds_write_b64 v0, v[16:17]
.LBB4_39:
	s_or_b64 exec, exec, s[10:11]
	flat_load_dwordx2 v[18:19], v[16:17] offset:56
	s_waitcnt vmcnt(0) lgkmcnt(0)
	flat_load_dwordx2 v[22:23], v[18:19] glc
	flat_load_dword v0, v[16:17] offset:72
	flat_load_dwordx2 v[1:2], v[16:17] offset:16
	s_waitcnt vmcnt(0) lgkmcnt(0)
	buffer_store_dword v1, off, s[0:3], s33 offset:60 ; 4-byte Folded Spill
	s_nop 0
	buffer_store_dword v2, off, s[0:3], s33 offset:64 ; 4-byte Folded Spill
	v_ashrrev_i32_e32 v0, 1, v0
	buffer_store_dword v0, off, s[0:3], s33 offset:68 ; 4-byte Folded Spill
.LBB4_40:
	s_or_b64 exec, exec, s[6:7]
.LBB4_41:
	s_or_b64 exec, exec, s[4:5]
	v_cmp_eq_u32_e64 s[4:5], 0, v54
	s_and_saveexec_b64 s[6:7], s[4:5]
	s_cbranch_execz .LBB4_43
; %bb.42:
	s_waitcnt vmcnt(0)
	v_mov_b32_e32 v0, v12
	v_mov_b32_e32 v1, v13
	;; [unrolled: 1-line block ×4, first 2 shown]
	ds_write2_b64 v0, v[0:1], v[2:3] offset1:1
	v_mov_b32_e32 v0, 0
	v_mov_b32_e32 v1, v0
	s_trap 2
	ds_write_b64 v0, v[0:1]
	ds_write_b64 v0, v[32:33]
.LBB4_43:
	s_or_b64 exec, exec, s[6:7]
	s_ashr_i32 s6, s12, 31
	s_lshr_b32 s6, s6, 29
	s_add_i32 s12, s12, s6
	v_bfe_u32 v2, v27, 1, 30
	v_and_b32_e32 v24, 0x1fffff00, v29
	v_mov_b32_e32 v25, 0
	s_ashr_i32 s30, s12, 4
	v_cmp_ne_u32_e32 vcc, v37, v2
                                        ; implicit-def: $vgpr20_vgpr21
	s_and_saveexec_b64 s[6:7], vcc
	s_xor_b64 s[24:25], exec, s[6:7]
	s_cbranch_execz .LBB4_397
; %bb.44:
	v_cmp_ne_u32_e32 vcc, v26, v2
                                        ; implicit-def: $vgpr20_vgpr21
	s_and_saveexec_b64 s[6:7], vcc
	s_xor_b64 s[26:27], exec, s[6:7]
	s_cbranch_execz .LBB4_226
; %bb.45:
	v_mov_b32_e32 v20, 0
	v_cmp_ne_u64_e32 vcc, 0, v[4:5]
	v_mov_b32_e32 v21, 0
	s_and_saveexec_b64 s[28:29], vcc
	s_cbranch_execz .LBB4_225
; %bb.46:
	buffer_store_dword v16, off, s[0:3], s33 offset:88 ; 4-byte Folded Spill
	s_nop 0
	buffer_store_dword v17, off, s[0:3], s33 offset:92 ; 4-byte Folded Spill
	s_trap 2
	buffer_load_dword v1, off, s[0:3], s33 offset:68 ; 4-byte Folded Reload
	v_and_b32_e32 v0, 63, v31
	v_cmp_eq_u32_e64 s[12:13], 0, v0
	v_ashrrev_i32_e32 v0, 31, v54
	v_lshrrev_b32_e32 v0, 26, v0
	v_add_u32_e32 v0, v54, v0
	buffer_store_dword v31, off, s[0:3], s33 offset:80 ; 4-byte Folded Spill
	v_ashrrev_i32_e32 v52, 6, v0
	s_lshr_b32 s6, s30, 27
	s_add_i32 s6, s30, s6
	s_waitcnt vmcnt(0)
	buffer_store_dword v15, off, s[0:3], s33 offset:84 ; 4-byte Folded Spill
	buffer_store_dword v14, off, s[0:3], s33 offset:96 ; 4-byte Folded Spill
	s_ashr_i32 s31, s6, 5
	v_cmp_ge_i32_e64 s[6:7], v54, v14
	v_cmp_eq_u32_e32 vcc, 64, v14
	v_cmp_ne_u32_e64 s[10:11], 64, v14
	v_cmp_ne_u32_sdwa s[40:41], v14, v15 src0_sel:DWORD src1_sel:WORD_0
	v_lshrrev_b32_e32 v39, 6, v14
	v_mov_b32_e32 v28, 0
	v_mov_b32_e32 v20, 0
	;; [unrolled: 1-line block ×3, first 2 shown]
	v_lshlrev_b32_e32 v55, 11, v39
	v_lshlrev_b32_e32 v44, 10, v39
	s_mov_b64 s[42:43], 0
	v_mov_b32_e32 v29, 0
	v_mov_b32_e32 v21, 0
	s_movk_i32 s34, 0x108
	v_mov_b32_e32 v46, 1
	s_xor_b64 s[44:45], vcc, -1
	s_movk_i32 s35, 0xfc80
	s_movk_i32 s36, 0xfd00
	;; [unrolled: 1-line block ×7, first 2 shown]
	v_mov_b32_e32 v47, 0xc8
	v_mov_b32_e32 v56, 0x90
	v_ashrrev_i32_e32 v30, 31, v1
	v_mov_b32_e32 v31, v1
	v_and_b32_e32 v1, 0xffffffc0, v0
	v_sub_u32_e32 v1, v54, v1
	v_lshlrev_b32_e32 v0, 11, v52
	v_lshl_add_u32 v0, v1, 4, v0
	buffer_store_dword v0, off, s[0:3], s33 offset:124 ; 4-byte Folded Spill
	v_ashrrev_i32_e32 v0, 31, v0
	buffer_store_dword v1, off, s[0:3], s33 offset:120 ; 4-byte Folded Spill
	buffer_store_dword v0, off, s[0:3], s33 offset:128 ; 4-byte Folded Spill
	v_lshlrev_b32_e32 v0, 1, v14
	buffer_load_dword v13, off, s[0:3], s33 offset:72 ; 4-byte Folded Reload
	buffer_load_dword v14, off, s[0:3], s33 offset:76 ; 4-byte Folded Reload
	s_nop 0
	buffer_store_dword v40, off, s[0:3], s33 offset:108 ; 4-byte Folded Spill
	s_nop 0
	buffer_store_dword v41, off, s[0:3], s33 offset:112 ; 4-byte Folded Spill
	buffer_load_dword v11, off, s[0:3], s33 offset:60 ; 4-byte Folded Reload
	buffer_load_dword v12, off, s[0:3], s33 offset:64 ; 4-byte Folded Reload
	v_cmp_le_i32_e64 s[14:15], v1, v36
	v_cmp_lt_i32_e64 s[16:17], v1, v36
	v_and_b32_e32 v45, 0x7f80, v0
	buffer_store_dword v52, off, s[0:3], s33 offset:116 ; 4-byte Folded Spill
	s_waitcnt vmcnt(0)
	v_cmp_eq_u64_e64 s[18:19], 0, v[13:14]
	s_branch .LBB4_49
.LBB4_47:                               ;   in Loop: Header=BB4_49 Depth=1
	s_or_b64 exec, exec, s[20:21]
.LBB4_48:                               ;   in Loop: Header=BB4_49 Depth=1
	s_or_b64 exec, exec, s[56:57]
	v_add_co_u32_e32 v28, vcc, v28, v24
	v_addc_co_u32_e32 v29, vcc, 0, v29, vcc
	v_cmp_ge_u64_e32 vcc, v[28:29], v[4:5]
	s_or_b64 s[42:43], vcc, s[42:43]
	s_andn2_b64 exec, exec, s[42:43]
	s_cbranch_execz .LBB4_224
.LBB4_49:                               ; =>This Loop Header: Depth=1
                                        ;     Child Loop BB4_58 Depth 2
                                        ;     Child Loop BB4_86 Depth 2
	;; [unrolled: 1-line block ×10, first 2 shown]
	v_sub_co_u32_e32 v0, vcc, v4, v28
	v_subb_co_u32_e32 v1, vcc, v5, v29, vcc
	v_cmp_lt_u64_e32 vcc, v[24:25], v[0:1]
	v_mov_b32_e32 v2, 0
	v_cndmask_b32_e64 v33, v1, 0, vcc
	v_cndmask_b32_e32 v32, v0, v24, vcc
	v_cmp_eq_u64_e32 vcc, 0, v[32:33]
	v_add_u32_e32 v0, 15, v32
	v_and_b32_e32 v0, 0x3ffffff0, v0
	s_or_b64 s[46:47], s[6:7], vcc
	v_max_i32_e32 v57, s31, v0
	s_xor_b64 s[20:21], s[46:47], -1
	s_and_saveexec_b64 s[56:57], s[20:21]
	s_cbranch_execz .LBB4_172
; %bb.50:                               ;   in Loop: Header=BB4_49 Depth=1
	s_and_saveexec_b64 s[20:21], s[4:5]
	s_cbranch_execz .LBB4_52
; %bb.51:                               ;   in Loop: Header=BB4_49 Depth=1
	s_trap 2
	ds_read_b64 v[0:1], v0
	s_waitcnt vmcnt(0)
	v_lshlrev_b64 v[2:3], 1, v[40:41]
	v_mov_b32_e32 v27, v26
	s_waitcnt lgkmcnt(0)
	v_add_co_u32_e32 v2, vcc, v0, v2
	v_addc_co_u32_e32 v3, vcc, v1, v3, vcc
	v_lshlrev_b64 v[0:1], 1, v[28:29]
	v_add_co_u32_e32 v0, vcc, v2, v0
	v_addc_co_u32_e32 v1, vcc, v3, v1, vcc
	ds_write_b64 v0, v[0:1]
	ds_write_b64 v0, v[26:27]
.LBB4_52:                               ;   in Loop: Header=BB4_49 Depth=1
	s_or_b64 exec, exec, s[20:21]
	v_and_b32_e32 v0, 12, v53
	v_min_u32_e32 v57, v57, v32
	v_cmp_ne_u32_e32 vcc, 0, v0
	s_and_saveexec_b64 s[58:59], vcc
	s_cbranch_execz .LBB4_78
; %bb.53:                               ;   in Loop: Header=BB4_49 Depth=1
	v_and_b32_e32 v27, 8, v53
	s_waitcnt vmcnt(0)
	v_add_co_u32_e32 v0, vcc, v22, v27
	v_addc_co_u32_e32 v1, vcc, 0, v23, vcc
	s_waitcnt lgkmcnt(0)
	v_add_co_u32_e32 v33, vcc, 1, v8
	v_addc_co_u32_e32 v34, vcc, 0, v9, vcc
	v_cmp_lt_u64_e32 vcc, v[0:1], v[33:34]
	s_and_saveexec_b64 s[60:61], vcc
	s_cbranch_execz .LBB4_65
; %bb.54:                               ;   in Loop: Header=BB4_49 Depth=1
	v_and_b32_e32 v0, 64, v53
	s_mov_b32 s50, 0
	v_cmp_eq_u32_e32 vcc, 0, v0
	s_mov_b64 s[62:63], 0
                                        ; implicit-def: $sgpr72_sgpr73
                                        ; implicit-def: $sgpr74_sgpr75
                                        ; implicit-def: $sgpr76_sgpr77
	s_branch .LBB4_58
.LBB4_55:                               ;   in Loop: Header=BB4_58 Depth=2
	s_waitcnt vmcnt(0) lgkmcnt(0)
	v_add_co_u32_e64 v0, s[20:21], v22, v27
	v_addc_co_u32_e64 v1, s[20:21], 0, v23, s[20:21]
	v_cmp_ge_u64_e64 s[20:21], v[0:1], v[33:34]
	s_or_b64 s[90:91], s[90:91], exec
	s_orn2_b64 s[88:89], s[20:21], exec
.LBB4_56:                               ;   in Loop: Header=BB4_58 Depth=2
	s_or_b64 exec, exec, s[94:95]
	s_andn2_b64 s[20:21], s[76:77], exec
	s_and_b64 s[76:77], s[90:91], exec
	s_or_b64 s[76:77], s[20:21], s[76:77]
	s_andn2_b64 s[20:21], s[74:75], exec
	s_and_b64 s[74:75], s[88:89], exec
	s_or_b64 s[74:75], s[20:21], s[74:75]
.LBB4_57:                               ;   in Loop: Header=BB4_58 Depth=2
	s_or_b64 exec, exec, s[78:79]
	s_and_b64 s[20:21], exec, s[74:75]
	s_or_b64 s[62:63], s[20:21], s[62:63]
	s_andn2_b64 s[20:21], s[72:73], exec
	s_and_b64 s[72:73], s[76:77], exec
	s_or_b64 s[72:73], s[20:21], s[72:73]
	s_andn2_b64 exec, exec, s[62:63]
	s_cbranch_execz .LBB4_62
.LBB4_58:                               ;   Parent Loop BB4_49 Depth=1
                                        ; =>  This Inner Loop Header: Depth=2
	s_sleep 1
	s_waitcnt vmcnt(0) lgkmcnt(0)
	flat_load_dwordx2 v[22:23], v[18:19] glc
	s_or_b64 s[76:77], s[76:77], exec
	s_or_b64 s[74:75], s[74:75], exec
                                        ; implicit-def: $vgpr2
	s_and_saveexec_b64 s[78:79], vcc
	s_cbranch_execz .LBB4_57
; %bb.59:                               ;   in Loop: Header=BB4_58 Depth=2
	s_cmpk_lt_i32 s50, 0x270f
	s_cselect_b64 s[92:93], -1, 0
	s_cmpk_gt_i32 s50, 0x270e
	s_mov_b64 s[88:89], -1
	s_cbranch_scc0 .LBB4_61
; %bb.60:                               ;   in Loop: Header=BB4_58 Depth=2
	s_trap 2
	ds_read_b64 v[0:1], v0
	s_andn2_b64 s[92:93], s[92:93], exec
	s_mov_b32 s50, 0
	s_mov_b64 s[90:91], 0
	s_waitcnt vmcnt(0) lgkmcnt(0)
	flat_load_dword v2, v[0:1] glc
	s_waitcnt vmcnt(0) lgkmcnt(0)
	buffer_wbinvl1_vol
	v_cmp_eq_u32_e64 s[20:21], 0, v2
	s_and_b64 s[20:21], s[20:21], exec
	s_or_b64 s[92:93], s[92:93], s[20:21]
	s_and_saveexec_b64 s[94:95], s[92:93]
	s_cbranch_execz .LBB4_56
	s_branch .LBB4_55
.LBB4_61:                               ;   in Loop: Header=BB4_58 Depth=2
	s_add_i32 s50, s50, 1
	s_mov_b64 s[90:91], -1
                                        ; implicit-def: $vgpr2
	s_and_saveexec_b64 s[94:95], s[92:93]
	s_cbranch_execz .LBB4_56
	s_branch .LBB4_55
.LBB4_62:                               ;   in Loop: Header=BB4_49 Depth=1
	s_or_b64 exec, exec, s[62:63]
	s_xor_b64 s[20:21], s[72:73], -1
	s_and_saveexec_b64 s[62:63], s[20:21]
	s_xor_b64 s[20:21], exec, s[62:63]
	s_cbranch_execz .LBB4_64
; %bb.63:                               ;   in Loop: Header=BB4_49 Depth=1
	v_or_b32_e32 v53, 64, v53
	s_waitcnt lgkmcnt(0)
	ds_write_b32 v0, v2
	s_trap 2
.LBB4_64:                               ;   in Loop: Header=BB4_49 Depth=1
	s_or_b64 exec, exec, s[20:21]
.LBB4_65:                               ;   in Loop: Header=BB4_49 Depth=1
	s_or_b64 exec, exec, s[60:61]
	v_and_b32_e32 v0, 0x108, v53
	v_cmp_ne_u32_e32 vcc, s34, v0
	v_and_b32_e32 v2, 7, v8
	;;#ASMSTART
	s_wakeup
	;;#ASMEND
	s_and_saveexec_b64 s[20:21], vcc
	s_xor_b64 s[20:21], exec, s[20:21]
                                        ; implicit-def: $vgpr3
; %bb.66:                               ;   in Loop: Header=BB4_49 Depth=1
	v_mov_b32_e32 v3, v26
; %bb.67:                               ;   in Loop: Header=BB4_49 Depth=1
	s_andn2_saveexec_b64 s[20:21], s[20:21]
	s_cbranch_execz .LBB4_69
; %bb.68:                               ;   in Loop: Header=BB4_49 Depth=1
	v_mad_u64_u32 v[0:1], s[60:61], v2, 24, v[6:7]
	v_mov_b32_e32 v3, v26
	v_lshlrev_b32_e32 v8, 1, v57
	v_mov_b32_e32 v9, v26
	flat_store_dwordx2 v[0:1], v[8:9] offset:8
.LBB4_69:                               ;   in Loop: Header=BB4_49 Depth=1
	s_or_b64 exec, exec, s[20:21]
	v_and_b32_e32 v0, 0x100, v53
	v_cmp_ne_u32_e32 vcc, 0, v0
	s_mov_b64 s[20:21], -1
                                        ; implicit-def: $vgpr8_vgpr9
	s_and_saveexec_b64 s[60:61], vcc
	s_cbranch_execz .LBB4_73
; %bb.70:                               ;   in Loop: Header=BB4_49 Depth=1
	v_mad_u64_u32 v[35:36], s[20:21], v2, 24, v[6:7]
                                        ; implicit-def: $vgpr8_vgpr9
	v_mov_b32_e32 v0, v36
	v_mad_u64_u32 v[0:1], s[20:21], v3, 24, v[0:1]
	v_mov_b32_e32 v36, v0
	flat_load_dword v0, v[35:36]
	s_waitcnt vmcnt(0) lgkmcnt(0)
	v_cmp_ne_u32_e32 vcc, 1, v0
	v_cmp_eq_u32_e64 s[20:21], 1, v0
	s_and_saveexec_b64 s[62:63], s[20:21]
	s_cbranch_execz .LBB4_72
; %bb.71:                               ;   in Loop: Header=BB4_49 Depth=1
	flat_load_dword v0, v[35:36] offset:4 glc
	s_waitcnt vmcnt(0) lgkmcnt(0)
	v_ashrrev_i32_e32 v1, 31, v0
	v_lshrrev_b64 v[8:9], 1, v[0:1]
.LBB4_72:                               ;   in Loop: Header=BB4_49 Depth=1
	s_or_b64 exec, exec, s[62:63]
	s_orn2_b64 s[20:21], vcc, exec
.LBB4_73:                               ;   in Loop: Header=BB4_49 Depth=1
	s_or_b64 exec, exec, s[60:61]
	s_and_saveexec_b64 s[60:61], s[20:21]
	s_cbranch_execz .LBB4_75
; %bb.74:                               ;   in Loop: Header=BB4_49 Depth=1
	v_mul_lo_u32 v0, v3, v31
	v_mul_lo_u32 v1, v2, v30
	v_mad_u64_u32 v[8:9], s[20:21], v2, v31, 0
	v_add3_u32 v9, v9, v1, v0
.LBB4_75:                               ;   in Loop: Header=BB4_49 Depth=1
	s_or_b64 exec, exec, s[60:61]
	v_lshlrev_b64 v[0:1], 1, v[8:9]
	v_cmp_eq_u32_e32 vcc, 0, v27
	v_cndmask_b32_e32 v2, v47, v56, vcc
	v_add_co_u32_e32 v0, vcc, v11, v0
	v_addc_co_u32_e32 v1, vcc, v12, v1, vcc
	v_add_u32_e32 v2, v0, v2
	ds_write_b64 v2, v[0:1] offset:584
	v_and_b32_e32 v0, 0x2000, v53
	v_cmp_ne_u32_e32 vcc, 0, v0
	s_and_saveexec_b64 s[20:21], vcc
	s_cbranch_execz .LBB4_77
; %bb.76:                               ;   in Loop: Header=BB4_49 Depth=1
	ds_read_b64 v[0:1], v0 offset:872
	s_waitcnt lgkmcnt(0)
	v_add_co_u32_e32 v0, vcc, 1, v0
	v_addc_co_u32_e32 v1, vcc, 0, v1, vcc
	ds_write_b64 v0, v[0:1] offset:872
.LBB4_77:                               ;   in Loop: Header=BB4_49 Depth=1
	s_or_b64 exec, exec, s[20:21]
	v_mov_b32_e32 v8, v33
	v_mov_b32_e32 v9, v34
.LBB4_78:                               ;   in Loop: Header=BB4_49 Depth=1
	s_or_b64 exec, exec, s[58:59]
	s_and_saveexec_b64 s[20:21], s[10:11]
	s_cbranch_execz .LBB4_97
; %bb.79:                               ;   in Loop: Header=BB4_49 Depth=1
	s_and_saveexec_b64 s[58:59], s[40:41]
	s_xor_b64 s[58:59], exec, s[58:59]
	s_cbranch_execz .LBB4_94
; %bb.80:                               ;   in Loop: Header=BB4_49 Depth=1
	s_and_saveexec_b64 s[60:61], s[12:13]
	s_cbranch_execz .LBB4_93
; %bb.81:                               ;   in Loop: Header=BB4_49 Depth=1
	s_mov_b64 s[72:73], exec
	v_mbcnt_lo_u32_b32 v0, s72, 0
	v_mbcnt_hi_u32_b32 v0, s73, v0
	v_cmp_eq_u32_e32 vcc, 0, v0
	s_waitcnt vmcnt(0) lgkmcnt(0)
	buffer_wbinvl1_vol
	s_and_saveexec_b64 s[62:63], vcc
	s_cbranch_execz .LBB4_83
; %bb.82:                               ;   in Loop: Header=BB4_49 Depth=1
	s_bcnt1_i32_b64 s72, s[72:73]
	v_mov_b32_e32 v0, s72
	v_mov_b32_e32 v1, v26
	ds_add_u64 v0, v[0:1]
	s_trap 2
.LBB4_83:                               ;   in Loop: Header=BB4_49 Depth=1
	s_or_b64 exec, exec, s[62:63]
	s_trap 2
	ds_read_b64 v[0:1], v0
	s_waitcnt lgkmcnt(0)
	v_add_co_u32_e32 v20, vcc, v20, v39
	v_addc_co_u32_e32 v21, vcc, 0, v21, vcc
	v_cmp_lt_u64_e32 vcc, v[0:1], v[20:21]
	s_and_saveexec_b64 s[62:63], vcc
	s_cbranch_execz .LBB4_92
; %bb.84:                               ;   in Loop: Header=BB4_49 Depth=1
	s_mov_b32 s92, 0
	s_mov_b64 s[72:73], 0
                                        ; implicit-def: $sgpr74_sgpr75
                                        ; implicit-def: $sgpr76_sgpr77
	s_branch .LBB4_86
.LBB4_85:                               ;   in Loop: Header=BB4_86 Depth=2
	s_or_b64 exec, exec, s[88:89]
	s_and_b64 s[78:79], exec, s[90:91]
	s_or_b64 s[72:73], s[78:79], s[72:73]
	s_andn2_b64 s[74:75], s[74:75], exec
	s_and_b64 s[78:79], s[76:77], exec
	s_or_b64 s[74:75], s[74:75], s[78:79]
	s_andn2_b64 exec, exec, s[72:73]
	s_cbranch_execz .LBB4_90
.LBB4_86:                               ;   Parent Loop BB4_49 Depth=1
                                        ; =>  This Inner Loop Header: Depth=2
	s_add_i32 s92, s92, 1
	s_cmpk_lg_i32 s92, 0x2710
	s_cselect_b64 s[78:79], -1, 0
	s_and_b64 vcc, exec, s[78:79]
	s_cbranch_vccz .LBB4_88
; %bb.87:                               ;   in Loop: Header=BB4_86 Depth=2
	s_mov_b64 s[90:91], -1
	s_or_b64 s[76:77], s[76:77], exec
	s_and_saveexec_b64 s[88:89], s[78:79]
	s_cbranch_execz .LBB4_85
	s_branch .LBB4_89
.LBB4_88:                               ;   in Loop: Header=BB4_86 Depth=2
	s_trap 2
	ds_read_b64 v[0:1], v0
	s_andn2_b64 s[78:79], s[78:79], exec
	s_mov_b32 s92, 0
	s_waitcnt lgkmcnt(0)
	flat_load_dword v0, v[0:1] glc
	s_waitcnt vmcnt(0) lgkmcnt(0)
	buffer_wbinvl1_vol
	v_cmp_eq_u32_e32 vcc, 0, v0
	s_and_b64 s[88:89], vcc, exec
	s_or_b64 s[78:79], s[78:79], s[88:89]
	s_mov_b64 s[90:91], -1
	s_or_b64 s[76:77], s[76:77], exec
	s_and_saveexec_b64 s[88:89], s[78:79]
	s_cbranch_execz .LBB4_85
.LBB4_89:                               ;   in Loop: Header=BB4_86 Depth=2
	s_sleep 1
	s_trap 2
	ds_read_b64 v[0:1], v0
	s_waitcnt lgkmcnt(0)
	s_andn2_b64 s[76:77], s[76:77], exec
	v_cmp_ge_u64_e32 vcc, v[0:1], v[20:21]
	s_orn2_b64 s[90:91], vcc, exec
	s_branch .LBB4_85
.LBB4_90:                               ;   in Loop: Header=BB4_49 Depth=1
	s_or_b64 exec, exec, s[72:73]
	s_and_saveexec_b64 s[72:73], s[74:75]
	s_xor_b64 s[72:73], exec, s[72:73]
	s_cbranch_execz .LBB4_92
; %bb.91:                               ;   in Loop: Header=BB4_49 Depth=1
	ds_write_b32 v0, v46
	s_trap 2
.LBB4_92:                               ;   in Loop: Header=BB4_49 Depth=1
	s_or_b64 exec, exec, s[62:63]
	;;#ASMSTART
	s_wakeup
	;;#ASMEND
.LBB4_93:                               ;   in Loop: Header=BB4_49 Depth=1
	s_or_b64 exec, exec, s[60:61]
.LBB4_94:                               ;   in Loop: Header=BB4_49 Depth=1
	s_andn2_saveexec_b64 s[58:59], s[58:59]
	s_cbranch_execz .LBB4_96
; %bb.95:                               ;   in Loop: Header=BB4_49 Depth=1
	s_waitcnt vmcnt(0) lgkmcnt(0)
	buffer_wbinvl1_vol
	s_barrier
.LBB4_96:                               ;   in Loop: Header=BB4_49 Depth=1
	s_or_b64 exec, exec, s[58:59]
.LBB4_97:                               ;   in Loop: Header=BB4_49 Depth=1
	s_or_b64 exec, exec, s[20:21]
	s_trap 2
	ds_read_b32 v27, v0
	v_and_b32_e32 v0, 0x4000, v53
	v_cmp_ne_u32_e32 vcc, 0, v0
	s_and_b64 s[58:59], s[44:45], vcc
	s_and_saveexec_b64 s[20:21], s[58:59]
	s_cbranch_execz .LBB4_116
; %bb.98:                               ;   in Loop: Header=BB4_49 Depth=1
	s_and_saveexec_b64 s[58:59], s[40:41]
	s_xor_b64 s[58:59], exec, s[58:59]
	s_cbranch_execz .LBB4_113
; %bb.99:                               ;   in Loop: Header=BB4_49 Depth=1
	s_and_saveexec_b64 s[60:61], s[12:13]
	s_cbranch_execz .LBB4_112
; %bb.100:                              ;   in Loop: Header=BB4_49 Depth=1
	s_mov_b64 s[72:73], exec
	v_mbcnt_lo_u32_b32 v0, s72, 0
	v_mbcnt_hi_u32_b32 v0, s73, v0
	v_cmp_eq_u32_e32 vcc, 0, v0
	s_waitcnt vmcnt(0) lgkmcnt(0)
	buffer_wbinvl1_vol
	s_and_saveexec_b64 s[62:63], vcc
	s_cbranch_execz .LBB4_102
; %bb.101:                              ;   in Loop: Header=BB4_49 Depth=1
	s_bcnt1_i32_b64 s72, s[72:73]
	v_mov_b32_e32 v0, s72
	v_mov_b32_e32 v1, v26
	ds_add_u64 v0, v[0:1]
	s_trap 2
.LBB4_102:                              ;   in Loop: Header=BB4_49 Depth=1
	s_or_b64 exec, exec, s[62:63]
	s_trap 2
	ds_read_b64 v[0:1], v0
	s_waitcnt lgkmcnt(0)
	v_add_co_u32_e32 v20, vcc, v20, v39
	v_addc_co_u32_e32 v21, vcc, 0, v21, vcc
	v_cmp_lt_u64_e32 vcc, v[0:1], v[20:21]
	s_and_saveexec_b64 s[62:63], vcc
	s_cbranch_execz .LBB4_111
; %bb.103:                              ;   in Loop: Header=BB4_49 Depth=1
	s_mov_b32 s92, 0
	s_mov_b64 s[72:73], 0
                                        ; implicit-def: $sgpr74_sgpr75
                                        ; implicit-def: $sgpr76_sgpr77
	s_branch .LBB4_105
.LBB4_104:                              ;   in Loop: Header=BB4_105 Depth=2
	s_or_b64 exec, exec, s[88:89]
	s_and_b64 s[78:79], exec, s[90:91]
	s_or_b64 s[72:73], s[78:79], s[72:73]
	s_andn2_b64 s[74:75], s[74:75], exec
	s_and_b64 s[78:79], s[76:77], exec
	s_or_b64 s[74:75], s[74:75], s[78:79]
	s_andn2_b64 exec, exec, s[72:73]
	s_cbranch_execz .LBB4_109
.LBB4_105:                              ;   Parent Loop BB4_49 Depth=1
                                        ; =>  This Inner Loop Header: Depth=2
	s_add_i32 s92, s92, 1
	s_cmpk_lg_i32 s92, 0x2710
	s_cselect_b64 s[78:79], -1, 0
	s_and_b64 vcc, exec, s[78:79]
	s_cbranch_vccz .LBB4_107
; %bb.106:                              ;   in Loop: Header=BB4_105 Depth=2
	s_mov_b64 s[90:91], -1
	s_or_b64 s[76:77], s[76:77], exec
	s_and_saveexec_b64 s[88:89], s[78:79]
	s_cbranch_execz .LBB4_104
	s_branch .LBB4_108
.LBB4_107:                              ;   in Loop: Header=BB4_105 Depth=2
	s_trap 2
	ds_read_b64 v[0:1], v0
	s_andn2_b64 s[78:79], s[78:79], exec
	s_mov_b32 s92, 0
	s_waitcnt lgkmcnt(0)
	flat_load_dword v0, v[0:1] glc
	s_waitcnt vmcnt(0) lgkmcnt(0)
	buffer_wbinvl1_vol
	v_cmp_eq_u32_e32 vcc, 0, v0
	s_and_b64 s[88:89], vcc, exec
	s_or_b64 s[78:79], s[78:79], s[88:89]
	s_mov_b64 s[90:91], -1
	s_or_b64 s[76:77], s[76:77], exec
	s_and_saveexec_b64 s[88:89], s[78:79]
	s_cbranch_execz .LBB4_104
.LBB4_108:                              ;   in Loop: Header=BB4_105 Depth=2
	s_sleep 1
	s_trap 2
	ds_read_b64 v[0:1], v0
	s_waitcnt lgkmcnt(0)
	s_andn2_b64 s[76:77], s[76:77], exec
	v_cmp_ge_u64_e32 vcc, v[0:1], v[20:21]
	s_orn2_b64 s[90:91], vcc, exec
	s_branch .LBB4_104
.LBB4_109:                              ;   in Loop: Header=BB4_49 Depth=1
	s_or_b64 exec, exec, s[72:73]
	s_and_saveexec_b64 s[72:73], s[74:75]
	s_xor_b64 s[72:73], exec, s[72:73]
	s_cbranch_execz .LBB4_111
; %bb.110:                              ;   in Loop: Header=BB4_49 Depth=1
	ds_write_b32 v0, v46
	s_trap 2
.LBB4_111:                              ;   in Loop: Header=BB4_49 Depth=1
	s_or_b64 exec, exec, s[62:63]
	;;#ASMSTART
	s_wakeup
	;;#ASMEND
.LBB4_112:                              ;   in Loop: Header=BB4_49 Depth=1
	s_or_b64 exec, exec, s[60:61]
.LBB4_113:                              ;   in Loop: Header=BB4_49 Depth=1
	s_andn2_saveexec_b64 s[58:59], s[58:59]
	s_cbranch_execz .LBB4_115
; %bb.114:                              ;   in Loop: Header=BB4_49 Depth=1
	s_waitcnt vmcnt(0) lgkmcnt(0)
	buffer_wbinvl1_vol
	s_barrier
.LBB4_115:                              ;   in Loop: Header=BB4_49 Depth=1
	s_or_b64 exec, exec, s[58:59]
.LBB4_116:                              ;   in Loop: Header=BB4_49 Depth=1
	s_or_b64 exec, exec, s[20:21]
	s_trap 2
	ds_read_b64 v[33:34], v0
	s_waitcnt lgkmcnt(0)
	v_cmp_eq_u64_e32 vcc, 0, v[33:34]
	s_cbranch_vccnz .LBB4_124
; %bb.117:                              ;   in Loop: Header=BB4_49 Depth=1
	s_trap 2
	ds_read_b64 v[35:36], v0
	s_waitcnt lgkmcnt(0)
	v_cmp_eq_u64_e32 vcc, 0, v[35:36]
	s_cbranch_vccnz .LBB4_124
; %bb.118:                              ;   in Loop: Header=BB4_49 Depth=1
	s_mov_b64 s[20:21], -1
	s_and_saveexec_b64 s[58:59], s[14:15]
	s_cbranch_execz .LBB4_120
; %bb.119:                              ;   in Loop: Header=BB4_49 Depth=1
	ds_read_b32 v0, v0 offset:720
	s_waitcnt lgkmcnt(0)
	v_and_b32_e32 v0, 15, v0
	v_cmp_eq_u32_e32 vcc, 0, v0
	s_orn2_b64 s[20:21], vcc, exec
.LBB4_120:                              ;   in Loop: Header=BB4_49 Depth=1
	s_or_b64 exec, exec, s[58:59]
	s_and_saveexec_b64 s[58:59], s[16:17]
	s_cbranch_execz .LBB4_122
; %bb.121:                              ;   in Loop: Header=BB4_49 Depth=1
	ds_read_b32 v0, v0 offset:784
	s_waitcnt lgkmcnt(0)
	v_and_b32_e32 v0, 15, v0
	v_cmp_eq_u32_e32 vcc, 0, v0
	s_and_b64 s[60:61], s[20:21], vcc
	s_andn2_b64 s[20:21], s[20:21], exec
	s_and_b64 s[60:61], s[60:61], exec
	s_or_b64 s[20:21], s[20:21], s[60:61]
.LBB4_122:                              ;   in Loop: Header=BB4_49 Depth=1
	s_or_b64 exec, exec, s[58:59]
	v_cmp_eq_u32_e32 vcc, 0, v27
	s_xor_b64 s[20:21], s[20:21], -1
	v_cndmask_b32_e32 v27, 0, v57, vcc
	v_cndmask_b32_e64 v0, 0, 1, s[20:21]
	v_lshlrev_b32_e32 v58, 1, v27
	s_mov_b64 s[60:61], -1
	v_cmp_ne_u32_e32 vcc, 0, v0
	v_mov_b32_e32 v59, 0
	s_cbranch_vccz .LBB4_125
; %bb.123:                              ;   in Loop: Header=BB4_49 Depth=1
	v_mov_b32_e32 v60, v54
	s_waitcnt vmcnt(0)
	v_mov_b32_e32 v37, v52
	s_and_saveexec_b64 s[20:21], s[60:61]
	s_cbranch_execnz .LBB4_138
	s_branch .LBB4_146
.LBB4_124:                              ;   in Loop: Header=BB4_49 Depth=1
	s_mov_b64 s[20:21], 0
	s_and_saveexec_b64 s[58:59], s[10:11]
	s_cbranch_execnz .LBB4_147
	s_branch .LBB4_165
.LBB4_125:                              ;   in Loop: Header=BB4_49 Depth=1
	v_lshrrev_b32_e32 v59, 10, v27
	s_waitcnt vmcnt(0)
	v_sub_u32_e32 v61, v59, v52
	v_cmp_lt_i32_e32 vcc, 0, v61
	s_and_saveexec_b64 s[20:21], vcc
	s_cbranch_execz .LBB4_129
; %bb.126:                              ;   in Loop: Header=BB4_49 Depth=1
	s_trap 2
	buffer_load_dword v2, off, s[0:3], s33 offset:124 ; 4-byte Folded Reload
	buffer_load_dword v3, off, s[0:3], s33 offset:128 ; 4-byte Folded Reload
	ds_read_b64 v[0:1], v0
	s_mov_b64 s[58:59], 0
	s_waitcnt vmcnt(0)
	v_add_co_u32_e32 v37, vcc, v33, v2
	v_addc_co_u32_e32 v38, vcc, v34, v3, vcc
	s_waitcnt lgkmcnt(0)
	v_add_co_u32_e32 v48, vcc, v0, v2
	v_addc_co_u32_e32 v49, vcc, v1, v3, vcc
	v_add_co_u32_e32 v50, vcc, v35, v2
	v_addc_co_u32_e32 v51, vcc, v36, v3, vcc
.LBB4_127:                              ;   Parent Loop BB4_49 Depth=1
                                        ; =>  This Inner Loop Header: Depth=2
	global_load_dwordx4 v[0:3], v[48:49], off glc slc
	global_load_dwordx4 v[10:13], v[37:38], off glc slc
	global_load_dwordx4 v[14:17], v[37:38], off offset:1024 glc slc
	global_load_dwordx4 v[40:43], v[48:49], off offset:1024 glc slc
	v_add_co_u32_e32 v37, vcc, v37, v55
	v_addc_co_u32_e32 v38, vcc, 0, v38, vcc
	v_add_co_u32_e32 v48, vcc, v48, v55
	v_addc_co_u32_e32 v49, vcc, 0, v49, vcc
	v_sub_u32_e32 v61, v61, v39
	v_cmp_gt_i32_e32 vcc, 1, v61
	s_or_b64 s[58:59], vcc, s[58:59]
	s_waitcnt vmcnt(2)
	v_add_f16_e32 v60, v10, v0
	v_add_f16_sdwa v0, v10, v0 dst_sel:WORD_1 dst_unused:UNUSED_PAD src0_sel:WORD_1 src1_sel:WORD_1
	v_add_f16_e32 v10, v11, v1
	v_add_f16_sdwa v1, v11, v1 dst_sel:WORD_1 dst_unused:UNUSED_PAD src0_sel:WORD_1 src1_sel:WORD_1
	;; [unrolled: 2-line block ×4, first 2 shown]
	s_waitcnt vmcnt(0)
	v_add_f16_e32 v13, v14, v40
	v_add_f16_sdwa v14, v14, v40 dst_sel:WORD_1 dst_unused:UNUSED_PAD src0_sel:WORD_1 src1_sel:WORD_1
	v_add_f16_e32 v40, v15, v41
	v_add_f16_sdwa v15, v15, v41 dst_sel:WORD_1 dst_unused:UNUSED_PAD src0_sel:WORD_1 src1_sel:WORD_1
	;; [unrolled: 2-line block ×4, first 2 shown]
	v_or_b32_e32 v1, v1, v10
	v_or_b32_e32 v0, v0, v60
	;; [unrolled: 1-line block ×8, first 2 shown]
	global_store_dwordx4 v[50:51], v[0:3], off glc slc
	global_store_dwordx4 v[50:51], v[10:13], off offset:1024 glc slc
	v_add_co_u32_e32 v50, vcc, v50, v55
	v_addc_co_u32_e32 v51, vcc, 0, v51, vcc
	s_andn2_b64 exec, exec, s[58:59]
	s_cbranch_execnz .LBB4_127
; %bb.128:                              ;   in Loop: Header=BB4_49 Depth=1
	s_or_b64 exec, exec, s[58:59]
	buffer_load_dword v40, off, s[0:3], s33 offset:108 ; 4-byte Folded Reload
	buffer_load_dword v41, off, s[0:3], s33 offset:112 ; 4-byte Folded Reload
	;; [unrolled: 1-line block ×7, first 2 shown]
.LBB4_129:                              ;   in Loop: Header=BB4_49 Depth=1
	s_or_b64 exec, exec, s[20:21]
	v_lshlrev_b32_e32 v42, 11, v59
	v_cmp_ne_u32_e32 vcc, v58, v42
	s_mov_b64 s[60:61], 0
	v_mov_b32_e32 v59, 0
                                        ; implicit-def: $vgpr60
                                        ; implicit-def: $vgpr37
	s_and_saveexec_b64 s[58:59], vcc
	s_cbranch_execz .LBB4_137
; %bb.130:                              ;   in Loop: Header=BB4_49 Depth=1
	buffer_load_dword v2, off, s[0:3], s33 offset:120 ; 4-byte Folded Reload
	v_lshlrev_b32_e32 v1, 6, v61
	v_sub_u32_e32 v0, v58, v42
	s_waitcnt vmcnt(0)
	v_sub_u32_e32 v1, v2, v1
	v_ashrrev_i32_e32 v2, 31, v1
	v_lshrrev_b32_e32 v2, 26, v2
	v_add_u32_e32 v2, v1, v2
	v_ashrrev_i32_e32 v10, 6, v2
	v_and_b32_e32 v2, 0xffffffc0, v2
	v_sub_u32_e32 v61, v1, v2
	v_lshlrev_b32_e32 v1, 4, v61
	v_lshl_add_u32 v37, v10, 10, v1
	v_ashrrev_i32_e32 v1, 31, v0
	v_lshrrev_b32_e32 v1, 22, v1
	v_add_u32_e32 v1, v0, v1
	v_and_b32_e32 v62, 0xfffffc00, v1
	v_sub_u32_e32 v3, v0, v62
	v_ashrrev_i32_e32 v2, 10, v1
	v_cmp_lt_i32_e32 vcc, 15, v3
	v_sub_u32_e32 v59, v0, v37
	v_addc_co_u32_e64 v0, s[20:21], 0, v2, vcc
	v_sub_u32_e32 v2, v0, v10
	v_cmp_lt_i32_e64 s[20:21], 15, v59
	s_and_saveexec_b64 s[60:61], s[20:21]
	s_cbranch_execz .LBB4_134
; %bb.131:                              ;   in Loop: Header=BB4_49 Depth=1
	s_trap 2
	ds_read_b64 v[0:1], v0
	v_add_u32_e32 v10, v37, v42
	v_ashrrev_i32_e32 v11, 31, v10
	v_add_co_u32_e64 v37, s[20:21], v10, v33
	v_addc_co_u32_e64 v38, s[20:21], v11, v34, s[20:21]
	s_waitcnt lgkmcnt(0)
	v_add_co_u32_e64 v48, s[20:21], v0, v10
	v_addc_co_u32_e64 v49, s[20:21], v1, v11, s[20:21]
	v_add_co_u32_e64 v50, s[20:21], v10, v35
	v_addc_co_u32_e64 v51, s[20:21], v11, v36, s[20:21]
	s_mov_b64 s[62:63], 0
.LBB4_132:                              ;   Parent Loop BB4_49 Depth=1
                                        ; =>  This Inner Loop Header: Depth=2
	global_load_dwordx4 v[10:13], v[37:38], off glc slc
	global_load_dwordx4 v[14:17], v[48:49], off glc slc
	v_add_co_u32_e64 v37, s[20:21], v37, v44
	v_addc_co_u32_e64 v38, s[20:21], 0, v38, s[20:21]
	v_add_co_u32_e64 v48, s[20:21], v48, v44
	v_addc_co_u32_e64 v49, s[20:21], 0, v49, s[20:21]
	v_sub_u32_e32 v59, v59, v44
	v_cmp_gt_i32_e64 s[20:21], 16, v59
	s_or_b64 s[62:63], s[20:21], s[62:63]
	v_sub_u32_e32 v2, v2, v39
	s_waitcnt vmcnt(0)
	v_add_f16_e32 v0, v10, v14
	v_add_f16_sdwa v1, v10, v14 dst_sel:WORD_1 dst_unused:UNUSED_PAD src0_sel:WORD_1 src1_sel:WORD_1
	v_add_f16_e32 v10, v11, v15
	v_add_f16_sdwa v11, v11, v15 dst_sel:WORD_1 dst_unused:UNUSED_PAD src0_sel:WORD_1 src1_sel:WORD_1
	;; [unrolled: 2-line block ×4, first 2 shown]
	v_or_b32_e32 v11, v11, v10
	v_or_b32_e32 v10, v1, v0
	;; [unrolled: 1-line block ×4, first 2 shown]
	global_store_dwordx4 v[50:51], v[10:13], off glc slc
	v_add_co_u32_e64 v50, s[20:21], v50, v44
	v_addc_co_u32_e64 v51, s[20:21], 0, v51, s[20:21]
	s_andn2_b64 exec, exec, s[62:63]
	s_cbranch_execnz .LBB4_132
; %bb.133:                              ;   in Loop: Header=BB4_49 Depth=1
	s_or_b64 exec, exec, s[62:63]
	buffer_load_dword v11, off, s[0:3], s33 offset:60 ; 4-byte Folded Reload
	buffer_load_dword v12, off, s[0:3], s33 offset:64 ; 4-byte Folded Reload
	;; [unrolled: 1-line block ×4, first 2 shown]
.LBB4_134:                              ;   in Loop: Header=BB4_49 Depth=1
	s_or_b64 exec, exec, s[60:61]
	v_and_b32_e32 v38, 14, v58
	v_cndmask_b32_e32 v58, v3, v38, vcc
	v_mov_b32_e32 v59, 0
	v_cmp_ne_u32_e64 s[20:21], 0, v58
	s_mov_b64 s[60:61], 0
                                        ; implicit-def: $vgpr60
                                        ; implicit-def: $vgpr37
	s_and_saveexec_b64 s[62:63], s[20:21]
	s_cbranch_execz .LBB4_136
; %bb.135:                              ;   in Loop: Header=BB4_49 Depth=1
	v_sub_u32_e32 v0, v3, v38
	v_cndmask_b32_e32 v0, 0, v0, vcc
	v_cmp_lt_i32_e32 vcc, 0, v2
	v_add3_u32 v59, v62, v42, v0
	v_cndmask_b32_e32 v0, 0, v39, vcc
	v_sub_u32_e32 v0, v0, v2
	v_lshl_add_u32 v60, v0, 6, v61
	v_ashrrev_i32_e32 v0, 31, v60
	v_lshrrev_b32_e32 v0, 26, v0
	v_add_u32_e32 v0, v60, v0
	s_mov_b64 s[60:61], exec
	v_ashrrev_i32_e32 v37, 6, v0
.LBB4_136:                              ;   in Loop: Header=BB4_49 Depth=1
	s_or_b64 exec, exec, s[62:63]
	s_and_b64 s[60:61], s[60:61], exec
.LBB4_137:                              ;   in Loop: Header=BB4_49 Depth=1
	s_or_b64 exec, exec, s[58:59]
	s_and_saveexec_b64 s[20:21], s[60:61]
	s_cbranch_execz .LBB4_146
.LBB4_138:                              ;   in Loop: Header=BB4_49 Depth=1
	v_ashrrev_i32_e32 v0, 31, v58
	v_lshrrev_b32_e32 v0, 22, v0
	v_add_u32_e32 v0, v58, v0
	v_ashrrev_i32_e32 v42, 10, v0
	v_sub_u32_e32 v61, v42, v37
	v_ashrrev_i32_e32 v0, 31, v60
	v_cmp_lt_i32_e32 vcc, 0, v61
	v_lshrrev_b32_e32 v62, 26, v0
	s_and_saveexec_b64 s[58:59], vcc
	s_cbranch_execz .LBB4_142
; %bb.139:                              ;   in Loop: Header=BB4_49 Depth=1
	v_add_u32_e32 v0, v60, v62
	v_and_b32_e32 v0, 0x7fffffc0, v0
	v_sub_u32_e32 v0, v60, v0
	v_lshlrev_b32_e32 v0, 1, v0
	v_lshlrev_b32_e32 v1, 10, v37
	v_add3_u32 v2, v0, v59, v1
	s_trap 2
	ds_read_b64 v[0:1], v0
	v_ashrrev_i32_e32 v3, 31, v2
	v_add_co_u32_e32 v37, vcc, v2, v33
	v_addc_co_u32_e32 v38, vcc, v3, v34, vcc
	s_waitcnt lgkmcnt(0)
	v_add_co_u32_e32 v48, vcc, v0, v2
	v_addc_co_u32_e32 v49, vcc, v1, v3, vcc
	v_add_co_u32_e32 v0, vcc, 0x380, v35
	v_addc_co_u32_e32 v1, vcc, 0, v36, vcc
	v_add_co_u32_e32 v50, vcc, v0, v2
	s_waitcnt vmcnt(0)
	v_mov_b32_e32 v52, v30
	v_addc_co_u32_e32 v51, vcc, v1, v3, vcc
	s_mov_b64 s[60:61], 0
.LBB4_140:                              ;   Parent Loop BB4_49 Depth=1
                                        ; =>  This Inner Loop Header: Depth=2
	flat_load_ushort v0, v[37:38] glc slc
	flat_load_ushort v1, v[37:38] offset:128 glc slc
	flat_load_ushort v2, v[37:38] offset:256 glc slc
	;; [unrolled: 1-line block ×7, first 2 shown]
	flat_load_ushort v14, v[48:49] glc slc
	flat_load_ushort v15, v[48:49] offset:128 glc slc
	flat_load_ushort v16, v[48:49] offset:256 glc slc
	;; [unrolled: 1-line block ×7, first 2 shown]
	v_sub_u32_e32 v61, v61, v39
	s_waitcnt vmcnt(0) lgkmcnt(0)
	v_add_f16_e32 v14, v0, v14
	v_add_co_u32_e32 v0, vcc, s35, v50
	v_add_f16_e32 v15, v1, v15
	v_addc_co_u32_e32 v1, vcc, -1, v51, vcc
	flat_store_short v[0:1], v14 glc slc
	v_add_co_u32_e32 v0, vcc, s36, v50
	v_addc_co_u32_e32 v1, vcc, -1, v51, vcc
	flat_store_short v[0:1], v15 glc slc
	v_add_co_u32_e32 v0, vcc, s37, v50
	v_add_f16_e32 v2, v2, v16
	v_addc_co_u32_e32 v1, vcc, -1, v51, vcc
	flat_store_short v[0:1], v2 glc slc
	v_add_co_u32_e32 v0, vcc, s38, v50
	v_add_f16_e32 v3, v3, v17
	;; [unrolled: 4-line block ×4, first 2 shown]
	v_addc_co_u32_e32 v1, vcc, -1, v51, vcc
	flat_store_short v[0:1], v11 glc slc
	v_add_co_u32_e32 v0, vcc, s49, v50
	v_addc_co_u32_e32 v1, vcc, -1, v51, vcc
	v_add_co_u32_e32 v37, vcc, v37, v44
	v_addc_co_u32_e32 v38, vcc, 0, v38, vcc
	v_add_co_u32_e32 v48, vcc, v48, v44
	v_add_f16_e32 v12, v12, v43
	v_addc_co_u32_e32 v49, vcc, 0, v49, vcc
	v_add_f16_e32 v13, v13, v30
	flat_store_short v[0:1], v12 glc slc
	flat_store_short v[50:51], v13 glc slc
	v_add_co_u32_e32 v50, vcc, v50, v44
	v_addc_co_u32_e32 v51, vcc, 0, v51, vcc
	v_cmp_gt_i32_e32 vcc, 1, v61
	s_or_b64 s[60:61], vcc, s[60:61]
	s_andn2_b64 exec, exec, s[60:61]
	s_cbranch_execnz .LBB4_140
; %bb.141:                              ;   in Loop: Header=BB4_49 Depth=1
	s_or_b64 exec, exec, s[60:61]
	buffer_load_dword v40, off, s[0:3], s33 offset:108 ; 4-byte Folded Reload
	buffer_load_dword v41, off, s[0:3], s33 offset:112 ; 4-byte Folded Reload
	;; [unrolled: 1-line block ×6, first 2 shown]
	v_mov_b32_e32 v30, v52
	buffer_load_dword v52, off, s[0:3], s33 offset:116 ; 4-byte Folded Reload
.LBB4_142:                              ;   in Loop: Header=BB4_49 Depth=1
	s_or_b64 exec, exec, s[58:59]
	v_lshlrev_b32_e32 v2, 10, v42
	v_cmp_ne_u32_e32 vcc, v58, v2
	s_and_b64 exec, exec, vcc
	s_cbranch_execz .LBB4_146
; %bb.143:                              ;   in Loop: Header=BB4_49 Depth=1
	v_add_u32_e32 v0, v60, v62
	v_and_b32_e32 v0, 0xffffffc0, v0
	v_sub_u32_e32 v0, v60, v0
	v_lshlrev_b32_e32 v1, 6, v61
	v_sub_u32_e32 v0, v0, v1
	v_ashrrev_i32_e32 v1, 31, v0
	v_lshrrev_b32_e32 v1, 26, v1
	v_add_u32_e32 v1, v0, v1
	v_and_b32_e32 v3, 0x7fffffc0, v1
	v_sub_u32_e32 v0, v0, v3
	v_lshlrev_b32_e32 v1, 1, v1
	v_and_b32_e32 v1, 0xffffff80, v1
	v_lshlrev_b32_e32 v0, 1, v0
	v_add3_u32 v3, v1, v0, v2
	v_sub_u32_e32 v2, v58, v3
	v_cmp_lt_i32_e32 vcc, 1, v2
	s_and_b64 exec, exec, vcc
	s_cbranch_execz .LBB4_146
; %bb.144:                              ;   in Loop: Header=BB4_49 Depth=1
	s_trap 2
	ds_read_b64 v[0:1], v0
	v_add_u32_e32 v3, v3, v59
	v_ashrrev_i32_e32 v10, 31, v3
	v_add_co_u32_e32 v33, vcc, v3, v33
	v_addc_co_u32_e32 v34, vcc, v10, v34, vcc
	s_waitcnt lgkmcnt(0)
	v_add_co_u32_e32 v37, vcc, v0, v3
	v_addc_co_u32_e32 v38, vcc, v1, v10, vcc
	v_add_co_u32_e32 v35, vcc, v3, v35
	v_addc_co_u32_e32 v36, vcc, v10, v36, vcc
	s_mov_b64 s[58:59], 0
.LBB4_145:                              ;   Parent Loop BB4_49 Depth=1
                                        ; =>  This Inner Loop Header: Depth=2
	flat_load_ushort v0, v[33:34] glc slc
	flat_load_ushort v1, v[37:38] glc slc
	v_add_co_u32_e32 v33, vcc, v33, v45
	v_addc_co_u32_e32 v34, vcc, 0, v34, vcc
	v_add_co_u32_e32 v37, vcc, v37, v45
	v_addc_co_u32_e32 v38, vcc, 0, v38, vcc
	v_sub_u32_e32 v2, v2, v45
	v_cmp_gt_i32_e32 vcc, 2, v2
	s_or_b64 s[58:59], vcc, s[58:59]
	s_waitcnt vmcnt(0) lgkmcnt(0)
	v_add_f16_e32 v0, v0, v1
	flat_store_short v[35:36], v0 glc slc
	v_add_co_u32_e32 v35, vcc, v35, v45
	v_addc_co_u32_e32 v36, vcc, 0, v36, vcc
	s_andn2_b64 exec, exec, s[58:59]
	s_cbranch_execnz .LBB4_145
.LBB4_146:                              ;   in Loop: Header=BB4_49 Depth=1
	s_or_b64 exec, exec, s[20:21]
	v_cmp_ne_u32_e64 s[20:21], 0, v27
	s_and_saveexec_b64 s[58:59], s[10:11]
	s_cbranch_execz .LBB4_165
.LBB4_147:                              ;   in Loop: Header=BB4_49 Depth=1
	s_and_saveexec_b64 s[60:61], s[40:41]
	s_xor_b64 s[60:61], exec, s[60:61]
	s_cbranch_execz .LBB4_162
; %bb.148:                              ;   in Loop: Header=BB4_49 Depth=1
	s_and_saveexec_b64 s[62:63], s[12:13]
	s_cbranch_execz .LBB4_161
; %bb.149:                              ;   in Loop: Header=BB4_49 Depth=1
	s_mov_b64 s[74:75], exec
	v_mbcnt_lo_u32_b32 v0, s74, 0
	v_mbcnt_hi_u32_b32 v0, s75, v0
	v_cmp_eq_u32_e32 vcc, 0, v0
	s_waitcnt vmcnt(0) lgkmcnt(0)
	buffer_wbinvl1_vol
	s_and_saveexec_b64 s[72:73], vcc
	s_cbranch_execz .LBB4_151
; %bb.150:                              ;   in Loop: Header=BB4_49 Depth=1
	s_bcnt1_i32_b64 s74, s[74:75]
	v_mov_b32_e32 v0, s74
	v_mov_b32_e32 v1, v26
	ds_add_u64 v0, v[0:1]
	s_trap 2
.LBB4_151:                              ;   in Loop: Header=BB4_49 Depth=1
	s_or_b64 exec, exec, s[72:73]
	s_trap 2
	ds_read_b64 v[0:1], v0
	s_waitcnt lgkmcnt(0)
	v_add_co_u32_e32 v20, vcc, v20, v39
	v_addc_co_u32_e32 v21, vcc, 0, v21, vcc
	v_cmp_lt_u64_e32 vcc, v[0:1], v[20:21]
	s_and_saveexec_b64 s[72:73], vcc
	s_cbranch_execz .LBB4_160
; %bb.152:                              ;   in Loop: Header=BB4_49 Depth=1
	s_mov_b32 s94, 0
	s_mov_b64 s[74:75], 0
                                        ; implicit-def: $sgpr76_sgpr77
                                        ; implicit-def: $sgpr78_sgpr79
	s_branch .LBB4_154
.LBB4_153:                              ;   in Loop: Header=BB4_154 Depth=2
	s_or_b64 exec, exec, s[90:91]
	s_and_b64 s[88:89], exec, s[92:93]
	s_or_b64 s[74:75], s[88:89], s[74:75]
	s_andn2_b64 s[76:77], s[76:77], exec
	s_and_b64 s[88:89], s[78:79], exec
	s_or_b64 s[76:77], s[76:77], s[88:89]
	s_andn2_b64 exec, exec, s[74:75]
	s_cbranch_execz .LBB4_158
.LBB4_154:                              ;   Parent Loop BB4_49 Depth=1
                                        ; =>  This Inner Loop Header: Depth=2
	s_add_i32 s94, s94, 1
	s_cmpk_lg_i32 s94, 0x2710
	s_cselect_b64 s[88:89], -1, 0
	s_and_b64 vcc, exec, s[88:89]
	s_cbranch_vccz .LBB4_156
; %bb.155:                              ;   in Loop: Header=BB4_154 Depth=2
	s_mov_b64 s[92:93], -1
	s_or_b64 s[78:79], s[78:79], exec
	s_and_saveexec_b64 s[90:91], s[88:89]
	s_cbranch_execz .LBB4_153
	s_branch .LBB4_157
.LBB4_156:                              ;   in Loop: Header=BB4_154 Depth=2
	s_trap 2
	ds_read_b64 v[0:1], v0
	s_andn2_b64 s[88:89], s[88:89], exec
	s_mov_b32 s94, 0
	s_waitcnt lgkmcnt(0)
	flat_load_dword v0, v[0:1] glc
	s_waitcnt vmcnt(0) lgkmcnt(0)
	buffer_wbinvl1_vol
	v_cmp_eq_u32_e32 vcc, 0, v0
	s_and_b64 s[90:91], vcc, exec
	s_or_b64 s[88:89], s[88:89], s[90:91]
	s_mov_b64 s[92:93], -1
	s_or_b64 s[78:79], s[78:79], exec
	s_and_saveexec_b64 s[90:91], s[88:89]
	s_cbranch_execz .LBB4_153
.LBB4_157:                              ;   in Loop: Header=BB4_154 Depth=2
	s_sleep 1
	s_trap 2
	ds_read_b64 v[0:1], v0
	s_waitcnt lgkmcnt(0)
	s_andn2_b64 s[78:79], s[78:79], exec
	v_cmp_ge_u64_e32 vcc, v[0:1], v[20:21]
	s_orn2_b64 s[92:93], vcc, exec
	s_branch .LBB4_153
.LBB4_158:                              ;   in Loop: Header=BB4_49 Depth=1
	s_or_b64 exec, exec, s[74:75]
	s_and_saveexec_b64 s[74:75], s[76:77]
	s_xor_b64 s[74:75], exec, s[74:75]
	s_cbranch_execz .LBB4_160
; %bb.159:                              ;   in Loop: Header=BB4_49 Depth=1
	ds_write_b32 v0, v46
	s_trap 2
.LBB4_160:                              ;   in Loop: Header=BB4_49 Depth=1
	s_or_b64 exec, exec, s[72:73]
	;;#ASMSTART
	s_wakeup
	;;#ASMEND
.LBB4_161:                              ;   in Loop: Header=BB4_49 Depth=1
	s_or_b64 exec, exec, s[62:63]
.LBB4_162:                              ;   in Loop: Header=BB4_49 Depth=1
	s_andn2_saveexec_b64 s[60:61], s[60:61]
	s_cbranch_execz .LBB4_164
; %bb.163:                              ;   in Loop: Header=BB4_49 Depth=1
	s_waitcnt vmcnt(0) lgkmcnt(0)
	buffer_wbinvl1_vol
	s_barrier
.LBB4_164:                              ;   in Loop: Header=BB4_49 Depth=1
	s_or_b64 exec, exec, s[60:61]
.LBB4_165:                              ;   in Loop: Header=BB4_49 Depth=1
	s_or_b64 exec, exec, s[58:59]
	v_and_b32_e32 v2, 16, v53
	v_cmp_ne_u32_e32 vcc, 0, v2
	s_and_b64 s[58:59], vcc, s[20:21]
	s_and_saveexec_b64 s[20:21], s[58:59]
	s_cbranch_execz .LBB4_167
; %bb.166:                              ;   in Loop: Header=BB4_49 Depth=1
	s_waitcnt vmcnt(0) lgkmcnt(0)
	buffer_wbinvl1_vol
.LBB4_167:                              ;   in Loop: Header=BB4_49 Depth=1
	s_or_b64 exec, exec, s[20:21]
	v_cmp_ne_u32_e32 vcc, 0, v2
	s_xor_b64 s[20:21], s[18:19], -1
	s_and_b64 s[58:59], vcc, s[20:21]
	s_and_saveexec_b64 s[20:21], s[58:59]
	s_cbranch_execz .LBB4_169
; %bb.168:                              ;   in Loop: Header=BB4_49 Depth=1
	s_waitcnt vmcnt(0)
	flat_store_dword v[13:14], v46
.LBB4_169:                              ;   in Loop: Header=BB4_49 Depth=1
	s_or_b64 exec, exec, s[20:21]
	v_and_b32_e32 v0, 48, v53
	v_cmp_ne_u32_e32 vcc, 0, v0
	s_and_saveexec_b64 s[20:21], vcc
	s_cbranch_execz .LBB4_171
; %bb.170:                              ;   in Loop: Header=BB4_49 Depth=1
	v_add_co_u32_e32 v8, vcc, 1, v8
	v_addc_co_u32_e32 v9, vcc, 0, v9, vcc
	flat_store_dwordx2 v[18:19], v[8:9]
.LBB4_171:                              ;   in Loop: Header=BB4_49 Depth=1
	s_or_b64 exec, exec, s[20:21]
	v_mov_b32_e32 v2, v57
.LBB4_172:                              ;   in Loop: Header=BB4_49 Depth=1
	s_or_b64 exec, exec, s[56:57]
	s_and_saveexec_b64 s[56:57], s[46:47]
	s_cbranch_execz .LBB4_48
; %bb.173:                              ;   in Loop: Header=BB4_49 Depth=1
	v_sub_u32_e32 v0, v32, v2
	v_min_i32_e32 v32, v57, v0
	v_and_b32_e32 v0, 12, v53
	v_cmp_ne_u32_e32 vcc, 0, v0
	s_and_saveexec_b64 s[46:47], vcc
	s_cbranch_execz .LBB4_199
; %bb.174:                              ;   in Loop: Header=BB4_49 Depth=1
	v_and_b32_e32 v27, 8, v53
	s_waitcnt vmcnt(0)
	v_add_co_u32_e32 v0, vcc, v22, v27
	v_addc_co_u32_e32 v1, vcc, 0, v23, vcc
	s_waitcnt lgkmcnt(0)
	v_add_co_u32_e32 v34, vcc, 1, v8
	v_addc_co_u32_e32 v35, vcc, 0, v9, vcc
	v_cmp_lt_u64_e32 vcc, v[0:1], v[34:35]
	s_and_saveexec_b64 s[58:59], vcc
	s_cbranch_execz .LBB4_186
; %bb.175:                              ;   in Loop: Header=BB4_49 Depth=1
	v_and_b32_e32 v0, 64, v53
	s_mov_b32 s94, 0
	v_cmp_eq_u32_e32 vcc, 0, v0
	s_mov_b64 s[60:61], 0
                                        ; implicit-def: $sgpr62_sgpr63
                                        ; implicit-def: $sgpr72_sgpr73
                                        ; implicit-def: $sgpr74_sgpr75
	s_branch .LBB4_179
.LBB4_176:                              ;   in Loop: Header=BB4_179 Depth=2
	s_waitcnt vmcnt(0) lgkmcnt(0)
	v_add_co_u32_e64 v0, s[20:21], v22, v27
	v_addc_co_u32_e64 v1, s[20:21], 0, v23, s[20:21]
	v_cmp_ge_u64_e64 s[20:21], v[0:1], v[34:35]
	s_or_b64 s[88:89], s[88:89], exec
	s_orn2_b64 s[78:79], s[20:21], exec
.LBB4_177:                              ;   in Loop: Header=BB4_179 Depth=2
	s_or_b64 exec, exec, s[92:93]
	s_andn2_b64 s[20:21], s[74:75], exec
	s_and_b64 s[74:75], s[88:89], exec
	s_or_b64 s[74:75], s[20:21], s[74:75]
	s_andn2_b64 s[20:21], s[72:73], exec
	s_and_b64 s[72:73], s[78:79], exec
	s_or_b64 s[72:73], s[20:21], s[72:73]
.LBB4_178:                              ;   in Loop: Header=BB4_179 Depth=2
	s_or_b64 exec, exec, s[76:77]
	s_and_b64 s[20:21], exec, s[72:73]
	s_or_b64 s[60:61], s[20:21], s[60:61]
	s_andn2_b64 s[20:21], s[62:63], exec
	s_and_b64 s[62:63], s[74:75], exec
	s_or_b64 s[62:63], s[20:21], s[62:63]
	s_andn2_b64 exec, exec, s[60:61]
	s_cbranch_execz .LBB4_183
.LBB4_179:                              ;   Parent Loop BB4_49 Depth=1
                                        ; =>  This Inner Loop Header: Depth=2
	s_sleep 1
	s_waitcnt vmcnt(0) lgkmcnt(0)
	flat_load_dwordx2 v[22:23], v[18:19] glc
	s_or_b64 s[74:75], s[74:75], exec
	s_or_b64 s[72:73], s[72:73], exec
                                        ; implicit-def: $vgpr2
	s_and_saveexec_b64 s[76:77], vcc
	s_cbranch_execz .LBB4_178
; %bb.180:                              ;   in Loop: Header=BB4_179 Depth=2
	s_cmpk_lt_i32 s94, 0x270f
	s_cselect_b64 s[90:91], -1, 0
	s_cmpk_gt_i32 s94, 0x270e
	s_mov_b64 s[78:79], -1
	s_cbranch_scc0 .LBB4_182
; %bb.181:                              ;   in Loop: Header=BB4_179 Depth=2
	s_trap 2
	ds_read_b64 v[0:1], v0
	s_andn2_b64 s[90:91], s[90:91], exec
	s_mov_b32 s94, 0
	s_mov_b64 s[88:89], 0
	s_waitcnt vmcnt(0) lgkmcnt(0)
	flat_load_dword v2, v[0:1] glc
	s_waitcnt vmcnt(0) lgkmcnt(0)
	buffer_wbinvl1_vol
	v_cmp_eq_u32_e64 s[20:21], 0, v2
	s_and_b64 s[20:21], s[20:21], exec
	s_or_b64 s[90:91], s[90:91], s[20:21]
	s_and_saveexec_b64 s[92:93], s[90:91]
	s_cbranch_execz .LBB4_177
	s_branch .LBB4_176
.LBB4_182:                              ;   in Loop: Header=BB4_179 Depth=2
	s_add_i32 s94, s94, 1
	s_mov_b64 s[88:89], -1
                                        ; implicit-def: $vgpr2
	s_and_saveexec_b64 s[92:93], s[90:91]
	s_cbranch_execz .LBB4_177
	s_branch .LBB4_176
.LBB4_183:                              ;   in Loop: Header=BB4_49 Depth=1
	s_or_b64 exec, exec, s[60:61]
	s_xor_b64 s[20:21], s[62:63], -1
	s_and_saveexec_b64 s[60:61], s[20:21]
	s_xor_b64 s[20:21], exec, s[60:61]
	s_cbranch_execz .LBB4_185
; %bb.184:                              ;   in Loop: Header=BB4_49 Depth=1
	v_or_b32_e32 v53, 64, v53
	s_waitcnt lgkmcnt(0)
	ds_write_b32 v0, v2
	s_trap 2
.LBB4_185:                              ;   in Loop: Header=BB4_49 Depth=1
	s_or_b64 exec, exec, s[20:21]
.LBB4_186:                              ;   in Loop: Header=BB4_49 Depth=1
	s_or_b64 exec, exec, s[58:59]
	v_and_b32_e32 v0, 0x108, v53
	v_cmp_ne_u32_e32 vcc, s34, v0
	v_and_b32_e32 v2, 7, v8
	;;#ASMSTART
	s_wakeup
	;;#ASMEND
	s_and_saveexec_b64 s[20:21], vcc
	s_xor_b64 s[20:21], exec, s[20:21]
                                        ; implicit-def: $vgpr3
; %bb.187:                              ;   in Loop: Header=BB4_49 Depth=1
	v_mov_b32_e32 v3, v26
; %bb.188:                              ;   in Loop: Header=BB4_49 Depth=1
	s_andn2_saveexec_b64 s[20:21], s[20:21]
	s_cbranch_execz .LBB4_190
; %bb.189:                              ;   in Loop: Header=BB4_49 Depth=1
	v_mad_u64_u32 v[0:1], s[58:59], v2, 24, v[6:7]
	v_ashrrev_i32_e32 v33, 31, v32
	v_lshlrev_b64 v[8:9], 1, v[32:33]
	v_mov_b32_e32 v3, v26
	flat_store_dwordx2 v[0:1], v[8:9] offset:8
.LBB4_190:                              ;   in Loop: Header=BB4_49 Depth=1
	s_or_b64 exec, exec, s[20:21]
	v_and_b32_e32 v0, 0x100, v53
	v_cmp_ne_u32_e32 vcc, 0, v0
	s_mov_b64 s[20:21], -1
                                        ; implicit-def: $vgpr8_vgpr9
	s_and_saveexec_b64 s[58:59], vcc
	s_cbranch_execz .LBB4_194
; %bb.191:                              ;   in Loop: Header=BB4_49 Depth=1
	v_mad_u64_u32 v[36:37], s[20:21], v2, 24, v[6:7]
                                        ; implicit-def: $vgpr8_vgpr9
	v_mov_b32_e32 v0, v37
	v_mad_u64_u32 v[0:1], s[20:21], v3, 24, v[0:1]
	v_mov_b32_e32 v37, v0
	flat_load_dword v0, v[36:37]
	s_waitcnt vmcnt(0) lgkmcnt(0)
	v_cmp_ne_u32_e32 vcc, 1, v0
	v_cmp_eq_u32_e64 s[20:21], 1, v0
	s_and_saveexec_b64 s[60:61], s[20:21]
	s_cbranch_execz .LBB4_193
; %bb.192:                              ;   in Loop: Header=BB4_49 Depth=1
	flat_load_dword v0, v[36:37] offset:4 glc
	s_waitcnt vmcnt(0) lgkmcnt(0)
	v_ashrrev_i32_e32 v1, 31, v0
	v_lshrrev_b64 v[8:9], 1, v[0:1]
.LBB4_193:                              ;   in Loop: Header=BB4_49 Depth=1
	s_or_b64 exec, exec, s[60:61]
	s_orn2_b64 s[20:21], vcc, exec
.LBB4_194:                              ;   in Loop: Header=BB4_49 Depth=1
	s_or_b64 exec, exec, s[58:59]
	s_and_saveexec_b64 s[58:59], s[20:21]
	s_cbranch_execz .LBB4_196
; %bb.195:                              ;   in Loop: Header=BB4_49 Depth=1
	v_mul_lo_u32 v0, v3, v31
	v_mul_lo_u32 v1, v2, v30
	v_mad_u64_u32 v[8:9], s[20:21], v2, v31, 0
	v_add3_u32 v9, v9, v1, v0
.LBB4_196:                              ;   in Loop: Header=BB4_49 Depth=1
	s_or_b64 exec, exec, s[58:59]
	v_lshlrev_b64 v[0:1], 1, v[8:9]
	v_cmp_eq_u32_e32 vcc, 0, v27
	v_cndmask_b32_e32 v2, v47, v56, vcc
	v_add_co_u32_e32 v0, vcc, v11, v0
	v_addc_co_u32_e32 v1, vcc, v12, v1, vcc
	v_add_u32_e32 v2, v0, v2
	ds_write_b64 v2, v[0:1] offset:584
	v_and_b32_e32 v0, 0x2000, v53
	v_cmp_ne_u32_e32 vcc, 0, v0
	s_and_saveexec_b64 s[20:21], vcc
	s_cbranch_execz .LBB4_198
; %bb.197:                              ;   in Loop: Header=BB4_49 Depth=1
	ds_read_b64 v[0:1], v0 offset:872
	s_waitcnt lgkmcnt(0)
	v_add_co_u32_e32 v0, vcc, 1, v0
	v_addc_co_u32_e32 v1, vcc, 0, v1, vcc
	ds_write_b64 v0, v[0:1] offset:872
.LBB4_198:                              ;   in Loop: Header=BB4_49 Depth=1
	s_or_b64 exec, exec, s[20:21]
	v_mov_b32_e32 v8, v34
	v_mov_b32_e32 v9, v35
.LBB4_199:                              ;   in Loop: Header=BB4_49 Depth=1
	s_or_b64 exec, exec, s[46:47]
	s_and_saveexec_b64 s[20:21], s[10:11]
	s_cbranch_execz .LBB4_218
; %bb.200:                              ;   in Loop: Header=BB4_49 Depth=1
	s_and_saveexec_b64 s[46:47], s[40:41]
	s_xor_b64 s[46:47], exec, s[46:47]
	s_cbranch_execz .LBB4_215
; %bb.201:                              ;   in Loop: Header=BB4_49 Depth=1
	s_and_saveexec_b64 s[58:59], s[12:13]
	s_cbranch_execz .LBB4_214
; %bb.202:                              ;   in Loop: Header=BB4_49 Depth=1
	s_mov_b64 s[62:63], exec
	v_mbcnt_lo_u32_b32 v0, s62, 0
	v_mbcnt_hi_u32_b32 v0, s63, v0
	v_cmp_eq_u32_e32 vcc, 0, v0
	s_waitcnt vmcnt(0) lgkmcnt(0)
	buffer_wbinvl1_vol
	s_and_saveexec_b64 s[60:61], vcc
	s_cbranch_execz .LBB4_204
; %bb.203:                              ;   in Loop: Header=BB4_49 Depth=1
	s_bcnt1_i32_b64 s62, s[62:63]
	v_mov_b32_e32 v0, s62
	v_mov_b32_e32 v1, v26
	ds_add_u64 v0, v[0:1]
	s_trap 2
.LBB4_204:                              ;   in Loop: Header=BB4_49 Depth=1
	s_or_b64 exec, exec, s[60:61]
	s_trap 2
	ds_read_b64 v[0:1], v0
	s_waitcnt lgkmcnt(0)
	v_add_co_u32_e32 v20, vcc, v20, v39
	v_addc_co_u32_e32 v21, vcc, 0, v21, vcc
	v_cmp_lt_u64_e32 vcc, v[0:1], v[20:21]
	s_and_saveexec_b64 s[60:61], vcc
	s_cbranch_execz .LBB4_213
; %bb.205:                              ;   in Loop: Header=BB4_49 Depth=1
	s_mov_b32 s90, 0
	s_mov_b64 s[62:63], 0
                                        ; implicit-def: $sgpr72_sgpr73
                                        ; implicit-def: $sgpr74_sgpr75
	s_branch .LBB4_207
.LBB4_206:                              ;   in Loop: Header=BB4_207 Depth=2
	s_or_b64 exec, exec, s[78:79]
	s_and_b64 s[76:77], exec, s[88:89]
	s_or_b64 s[62:63], s[76:77], s[62:63]
	s_andn2_b64 s[72:73], s[72:73], exec
	s_and_b64 s[76:77], s[74:75], exec
	s_or_b64 s[72:73], s[72:73], s[76:77]
	s_andn2_b64 exec, exec, s[62:63]
	s_cbranch_execz .LBB4_211
.LBB4_207:                              ;   Parent Loop BB4_49 Depth=1
                                        ; =>  This Inner Loop Header: Depth=2
	s_add_i32 s90, s90, 1
	s_cmpk_lg_i32 s90, 0x2710
	s_cselect_b64 s[76:77], -1, 0
	s_and_b64 vcc, exec, s[76:77]
	s_cbranch_vccz .LBB4_209
; %bb.208:                              ;   in Loop: Header=BB4_207 Depth=2
	s_mov_b64 s[88:89], -1
	s_or_b64 s[74:75], s[74:75], exec
	s_and_saveexec_b64 s[78:79], s[76:77]
	s_cbranch_execz .LBB4_206
	s_branch .LBB4_210
.LBB4_209:                              ;   in Loop: Header=BB4_207 Depth=2
	s_trap 2
	ds_read_b64 v[0:1], v0
	s_andn2_b64 s[76:77], s[76:77], exec
	s_mov_b32 s90, 0
	s_waitcnt lgkmcnt(0)
	flat_load_dword v0, v[0:1] glc
	s_waitcnt vmcnt(0) lgkmcnt(0)
	buffer_wbinvl1_vol
	v_cmp_eq_u32_e32 vcc, 0, v0
	s_and_b64 s[78:79], vcc, exec
	s_or_b64 s[76:77], s[76:77], s[78:79]
	s_mov_b64 s[88:89], -1
	s_or_b64 s[74:75], s[74:75], exec
	s_and_saveexec_b64 s[78:79], s[76:77]
	s_cbranch_execz .LBB4_206
.LBB4_210:                              ;   in Loop: Header=BB4_207 Depth=2
	s_sleep 1
	s_trap 2
	ds_read_b64 v[0:1], v0
	s_waitcnt lgkmcnt(0)
	s_andn2_b64 s[74:75], s[74:75], exec
	v_cmp_ge_u64_e32 vcc, v[0:1], v[20:21]
	s_orn2_b64 s[88:89], vcc, exec
	s_branch .LBB4_206
.LBB4_211:                              ;   in Loop: Header=BB4_49 Depth=1
	s_or_b64 exec, exec, s[62:63]
	s_and_saveexec_b64 s[62:63], s[72:73]
	s_xor_b64 s[62:63], exec, s[62:63]
	s_cbranch_execz .LBB4_213
; %bb.212:                              ;   in Loop: Header=BB4_49 Depth=1
	ds_write_b32 v0, v46
	s_trap 2
.LBB4_213:                              ;   in Loop: Header=BB4_49 Depth=1
	s_or_b64 exec, exec, s[60:61]
	;;#ASMSTART
	s_wakeup
	;;#ASMEND
.LBB4_214:                              ;   in Loop: Header=BB4_49 Depth=1
	s_or_b64 exec, exec, s[58:59]
.LBB4_215:                              ;   in Loop: Header=BB4_49 Depth=1
	s_andn2_saveexec_b64 s[46:47], s[46:47]
	s_cbranch_execz .LBB4_217
; %bb.216:                              ;   in Loop: Header=BB4_49 Depth=1
	s_waitcnt vmcnt(0) lgkmcnt(0)
	buffer_wbinvl1_vol
	s_barrier
.LBB4_217:                              ;   in Loop: Header=BB4_49 Depth=1
	s_or_b64 exec, exec, s[46:47]
.LBB4_218:                              ;   in Loop: Header=BB4_49 Depth=1
	s_or_b64 exec, exec, s[20:21]
	s_trap 2
	ds_read_b32 v0, v0
	v_cmp_lt_i32_e32 vcc, 0, v32
	v_and_b32_e32 v2, 16, v53
	s_waitcnt lgkmcnt(0)
	v_readfirstlane_b32 s20, v0
	s_cmp_eq_u32 s20, 0
	s_cselect_b64 s[20:21], -1, 0
	s_and_b64 s[20:21], vcc, s[20:21]
	v_cmp_ne_u32_e32 vcc, 0, v2
	s_and_b64 s[46:47], vcc, s[20:21]
	s_and_saveexec_b64 s[20:21], s[46:47]
	s_cbranch_execz .LBB4_220
; %bb.219:                              ;   in Loop: Header=BB4_49 Depth=1
	s_waitcnt vmcnt(0)
	buffer_wbinvl1_vol
.LBB4_220:                              ;   in Loop: Header=BB4_49 Depth=1
	s_or_b64 exec, exec, s[20:21]
	v_cmp_ne_u32_e32 vcc, 0, v2
	s_xor_b64 s[20:21], s[18:19], -1
	s_and_b64 s[46:47], vcc, s[20:21]
	s_and_saveexec_b64 s[20:21], s[46:47]
	s_cbranch_execz .LBB4_222
; %bb.221:                              ;   in Loop: Header=BB4_49 Depth=1
	s_waitcnt vmcnt(0)
	flat_store_dword v[13:14], v46
.LBB4_222:                              ;   in Loop: Header=BB4_49 Depth=1
	s_or_b64 exec, exec, s[20:21]
	v_and_b32_e32 v0, 48, v53
	v_cmp_ne_u32_e32 vcc, 0, v0
	s_and_saveexec_b64 s[20:21], vcc
	s_cbranch_execz .LBB4_47
; %bb.223:                              ;   in Loop: Header=BB4_49 Depth=1
	v_add_co_u32_e32 v8, vcc, 1, v8
	v_addc_co_u32_e32 v9, vcc, 0, v9, vcc
	flat_store_dwordx2 v[18:19], v[8:9]
	s_branch .LBB4_47
.LBB4_224:
	s_or_b64 exec, exec, s[42:43]
	buffer_load_dword v31, off, s[0:3], s33 offset:80 ; 4-byte Folded Reload
	buffer_load_dword v14, off, s[0:3], s33 offset:96 ; 4-byte Folded Reload
	buffer_load_dword v15, off, s[0:3], s33 offset:84 ; 4-byte Folded Reload
	buffer_load_dword v16, off, s[0:3], s33 offset:88 ; 4-byte Folded Reload
	buffer_load_dword v17, off, s[0:3], s33 offset:92 ; 4-byte Folded Reload
.LBB4_225:
	s_or_b64 exec, exec, s[28:29]
                                        ; implicit-def: $vgpr0
                                        ; implicit-def: $vgpr40_vgpr41
                                        ; implicit-def: $vgpr4_vgpr5
                                        ; kill: killed $vgpr0
                                        ; implicit-def: $vgpr22_vgpr23
                                        ; implicit-def: $vgpr18_vgpr19
                                        ; implicit-def: $vgpr54
                                        ; implicit-def: $vgpr36
                                        ; implicit-def: $vgpr24
                                        ; implicit-def: $vgpr0_vgpr1
                                        ; kill: killed $vgpr0_vgpr1
.LBB4_226:
	s_andn2_saveexec_b64 s[20:21], s[26:27]
	s_cbranch_execz .LBB4_396
; %bb.227:
	v_mov_b32_e32 v20, 0
	v_cmp_ne_u64_e32 vcc, 0, v[4:5]
	v_mov_b32_e32 v21, 0
	s_and_saveexec_b64 s[26:27], vcc
	s_cbranch_execz .LBB4_395
; %bb.228:
	s_waitcnt vmcnt(0)
	v_and_b32_e32 v0, 63, v31
	v_cmp_eq_u32_e64 s[12:13], 0, v0
	v_ashrrev_i32_e32 v0, 31, v54
	v_lshrrev_b32_e32 v0, 26, v0
	v_add_u32_e32 v0, v54, v0
	buffer_store_dword v16, off, s[0:3], s33 offset:88 ; 4-byte Folded Spill
	s_nop 0
	buffer_store_dword v17, off, s[0:3], s33 offset:92 ; 4-byte Folded Spill
	s_trap 2
	buffer_store_dword v31, off, s[0:3], s33 offset:80 ; 4-byte Folded Spill
	v_ashrrev_i32_e32 v31, 6, v0
	v_and_b32_e32 v0, 0xffffffc0, v0
	s_lshr_b32 s6, s30, 27
	v_sub_u32_e32 v1, v54, v0
	s_add_i32 s6, s30, s6
	buffer_store_dword v15, off, s[0:3], s33 offset:84 ; 4-byte Folded Spill
	v_lshlrev_b32_e32 v0, 11, v31
	buffer_store_dword v1, off, s[0:3], s33 offset:72 ; 4-byte Folded Spill
	buffer_store_dword v14, off, s[0:3], s33 offset:96 ; 4-byte Folded Spill
	s_ashr_i32 s94, s6, 5
	v_cmp_ge_i32_e64 s[6:7], v54, v14
	v_cmp_eq_u32_e32 vcc, 64, v14
	v_cmp_ne_u32_e64 s[10:11], 64, v14
	v_cmp_ne_u32_sdwa s[28:29], v14, v15 src0_sel:DWORD src1_sel:WORD_0
	v_lshrrev_b32_e32 v48, 6, v14
	v_lshl_add_u32 v62, v1, 4, v0
	v_lshlrev_b32_e32 v0, 1, v14
	buffer_load_dword v14, off, s[0:3], s33 offset:60 ; 4-byte Folded Reload
	buffer_load_dword v15, off, s[0:3], s33 offset:64 ; 4-byte Folded Reload
	v_mov_b32_e32 v16, v40
	v_mov_b32_e32 v26, 0
	;; [unrolled: 1-line block ×5, first 2 shown]
	v_cmp_le_i32_e64 s[14:15], v1, v36
	v_cmp_gt_i32_e64 s[16:17], 1, v1
	v_lshlrev_b32_e32 v40, 11, v48
	v_lshlrev_b32_e32 v41, 10, v48
	v_and_b32_e32 v42, 0x7f80, v0
	s_mov_b64 s[40:41], 0
	v_mov_b32_e32 v27, 0
	v_mov_b32_e32 v21, 0
	;; [unrolled: 1-line block ×3, first 2 shown]
	s_xor_b64 s[42:43], vcc, -1
	s_movk_i32 s95, 0xfc80
	s_movk_i32 s31, 0xfd00
	;; [unrolled: 1-line block ×7, first 2 shown]
	s_branch .LBB4_231
.LBB4_229:                              ;   in Loop: Header=BB4_231 Depth=1
	s_or_b64 exec, exec, s[18:19]
.LBB4_230:                              ;   in Loop: Header=BB4_231 Depth=1
	s_or_b64 exec, exec, s[46:47]
	v_add_co_u32_e32 v26, vcc, v26, v24
	v_addc_co_u32_e32 v27, vcc, 0, v27, vcc
	v_cmp_ge_u64_e32 vcc, v[26:27], v[4:5]
	s_or_b64 s[40:41], vcc, s[40:41]
	s_andn2_b64 exec, exec, s[40:41]
	s_cbranch_execz .LBB4_394
.LBB4_231:                              ; =>This Loop Header: Depth=1
                                        ;     Child Loop BB4_240 Depth 2
                                        ;     Child Loop BB4_264 Depth 2
	;; [unrolled: 1-line block ×10, first 2 shown]
	v_sub_co_u32_e32 v0, vcc, v4, v26
	v_subb_co_u32_e32 v1, vcc, v5, v27, vcc
	v_cmp_lt_u64_e32 vcc, v[24:25], v[0:1]
	v_mov_b32_e32 v34, 0
	v_cndmask_b32_e64 v29, v1, 0, vcc
	v_cndmask_b32_e32 v28, v0, v24, vcc
	v_cmp_eq_u64_e32 vcc, 0, v[28:29]
	v_add_u32_e32 v0, 15, v28
	v_and_b32_e32 v0, 0x3ffffff0, v0
	s_or_b64 s[44:45], s[6:7], vcc
	v_max_i32_e32 v44, s94, v0
	s_xor_b64 s[18:19], s[44:45], -1
	s_and_saveexec_b64 s[46:47], s[18:19]
	s_cbranch_execz .LBB4_348
; %bb.232:                              ;   in Loop: Header=BB4_231 Depth=1
	s_and_saveexec_b64 s[18:19], s[4:5]
	s_cbranch_execz .LBB4_234
; %bb.233:                              ;   in Loop: Header=BB4_231 Depth=1
	s_trap 2
	s_waitcnt vmcnt(0)
	ds_read2_b64 v[12:15], v0 offset1:1
	v_mov_b32_e32 v0, v16
	v_mov_b32_e32 v1, v17
	v_add_co_u32_e32 v0, vcc, v26, v0
	v_addc_co_u32_e32 v1, vcc, v27, v1, vcc
	v_lshlrev_b64 v[0:1], 1, v[0:1]
	s_waitcnt lgkmcnt(0)
	v_add_co_u32_e32 v12, vcc, v12, v0
	v_addc_co_u32_e32 v13, vcc, v13, v1, vcc
	ds_write_b64 v0, v[12:13]
	v_add_co_u32_e32 v12, vcc, v14, v0
	ds_read_b64 v[2:3], v0
	v_addc_co_u32_e32 v13, vcc, v15, v1, vcc
	buffer_load_dword v14, off, s[0:3], s33 offset:60 ; 4-byte Folded Reload
	buffer_load_dword v15, off, s[0:3], s33 offset:64 ; 4-byte Folded Reload
	ds_write_b64 v0, v[12:13]
	s_waitcnt lgkmcnt(1)
	v_add_co_u32_e32 v0, vcc, v2, v0
	v_addc_co_u32_e32 v1, vcc, v3, v1, vcc
	v_cmp_ne_u64_e32 vcc, 0, v[2:3]
	v_cndmask_b32_e32 v1, 0, v1, vcc
	v_cndmask_b32_e32 v0, 0, v0, vcc
	ds_write_b64 v0, v[0:1]
.LBB4_234:                              ;   in Loop: Header=BB4_231 Depth=1
	s_or_b64 exec, exec, s[18:19]
	v_and_b32_e32 v0, 4, v53
	v_cmp_ne_u32_e32 vcc, 0, v0
	s_and_saveexec_b64 s[56:57], vcc
	s_cbranch_execz .LBB4_256
; %bb.235:                              ;   in Loop: Header=BB4_231 Depth=1
	s_waitcnt lgkmcnt(0)
	v_add_co_u32_e32 v29, vcc, 1, v8
	v_addc_co_u32_e32 v30, vcc, 0, v9, vcc
	v_cmp_lt_u64_e32 vcc, v[22:23], v[29:30]
	s_and_saveexec_b64 s[58:59], vcc
	s_cbranch_execz .LBB4_247
; %bb.236:                              ;   in Loop: Header=BB4_231 Depth=1
	v_and_b32_e32 v0, 64, v53
	s_mov_b32 s39, 0
	v_cmp_eq_u32_e32 vcc, 0, v0
	s_mov_b64 s[60:61], 0
                                        ; implicit-def: $sgpr62_sgpr63
                                        ; implicit-def: $sgpr72_sgpr73
                                        ; implicit-def: $sgpr74_sgpr75
	s_branch .LBB4_240
.LBB4_237:                              ;   in Loop: Header=BB4_240 Depth=2
	s_waitcnt vmcnt(0) lgkmcnt(0)
	v_cmp_ge_u64_e64 s[18:19], v[22:23], v[29:30]
	s_or_b64 s[88:89], s[88:89], exec
	s_orn2_b64 s[78:79], s[18:19], exec
.LBB4_238:                              ;   in Loop: Header=BB4_240 Depth=2
	s_or_b64 exec, exec, s[92:93]
	s_andn2_b64 s[18:19], s[74:75], exec
	s_and_b64 s[74:75], s[88:89], exec
	s_or_b64 s[74:75], s[18:19], s[74:75]
	s_andn2_b64 s[18:19], s[72:73], exec
	s_and_b64 s[72:73], s[78:79], exec
	s_or_b64 s[72:73], s[18:19], s[72:73]
.LBB4_239:                              ;   in Loop: Header=BB4_240 Depth=2
	s_or_b64 exec, exec, s[76:77]
	s_and_b64 s[18:19], exec, s[72:73]
	s_or_b64 s[60:61], s[18:19], s[60:61]
	s_andn2_b64 s[18:19], s[62:63], exec
	s_and_b64 s[62:63], s[74:75], exec
	s_or_b64 s[62:63], s[18:19], s[62:63]
	s_andn2_b64 exec, exec, s[60:61]
	s_cbranch_execz .LBB4_244
.LBB4_240:                              ;   Parent Loop BB4_231 Depth=1
                                        ; =>  This Inner Loop Header: Depth=2
	s_sleep 1
	s_waitcnt vmcnt(0) lgkmcnt(0)
	flat_load_dwordx2 v[22:23], v[18:19] glc
	s_or_b64 s[74:75], s[74:75], exec
	s_or_b64 s[72:73], s[72:73], exec
                                        ; implicit-def: $vgpr2
	s_and_saveexec_b64 s[76:77], vcc
	s_cbranch_execz .LBB4_239
; %bb.241:                              ;   in Loop: Header=BB4_240 Depth=2
	s_cmpk_lt_i32 s39, 0x270f
	s_cselect_b64 s[90:91], -1, 0
	s_cmpk_gt_i32 s39, 0x270e
	s_mov_b64 s[78:79], -1
	s_cbranch_scc0 .LBB4_243
; %bb.242:                              ;   in Loop: Header=BB4_240 Depth=2
	s_trap 2
	ds_read_b64 v[0:1], v0
	s_andn2_b64 s[90:91], s[90:91], exec
	s_mov_b32 s39, 0
	s_mov_b64 s[88:89], 0
	s_waitcnt vmcnt(0) lgkmcnt(0)
	flat_load_dword v2, v[0:1] glc
	s_waitcnt vmcnt(0) lgkmcnt(0)
	buffer_wbinvl1_vol
	v_cmp_eq_u32_e64 s[18:19], 0, v2
	s_and_b64 s[18:19], s[18:19], exec
	s_or_b64 s[90:91], s[90:91], s[18:19]
	s_and_saveexec_b64 s[92:93], s[90:91]
	s_cbranch_execz .LBB4_238
	s_branch .LBB4_237
.LBB4_243:                              ;   in Loop: Header=BB4_240 Depth=2
	s_add_i32 s39, s39, 1
	s_mov_b64 s[88:89], -1
                                        ; implicit-def: $vgpr2
	s_and_saveexec_b64 s[92:93], s[90:91]
	s_cbranch_execz .LBB4_238
	s_branch .LBB4_237
.LBB4_244:                              ;   in Loop: Header=BB4_231 Depth=1
	s_or_b64 exec, exec, s[60:61]
	s_xor_b64 s[18:19], s[62:63], -1
	s_and_saveexec_b64 s[60:61], s[18:19]
	s_xor_b64 s[18:19], exec, s[60:61]
	s_cbranch_execz .LBB4_246
; %bb.245:                              ;   in Loop: Header=BB4_231 Depth=1
	v_or_b32_e32 v53, 64, v53
	s_waitcnt lgkmcnt(0)
	ds_write_b32 v0, v2
	s_trap 2
.LBB4_246:                              ;   in Loop: Header=BB4_231 Depth=1
	s_or_b64 exec, exec, s[18:19]
.LBB4_247:                              ;   in Loop: Header=BB4_231 Depth=1
	s_or_b64 exec, exec, s[58:59]
	v_and_b32_e32 v0, 0x100, v53
	v_cmp_ne_u32_e32 vcc, 0, v0
	v_and_b32_e32 v2, 7, v8
	s_mov_b64 s[18:19], -1
	;;#ASMSTART
	s_wakeup
	;;#ASMEND
                                        ; implicit-def: $vgpr8_vgpr9
	s_and_saveexec_b64 s[58:59], vcc
	s_cbranch_execz .LBB4_251
; %bb.248:                              ;   in Loop: Header=BB4_231 Depth=1
	v_mad_u64_u32 v[32:33], s[18:19], v2, 24, v[6:7]
                                        ; implicit-def: $vgpr8_vgpr9
	flat_load_dword v0, v[32:33]
	s_waitcnt vmcnt(0) lgkmcnt(0)
	v_cmp_ne_u32_e32 vcc, 1, v0
	v_cmp_eq_u32_e64 s[18:19], 1, v0
	s_and_saveexec_b64 s[60:61], s[18:19]
	s_cbranch_execz .LBB4_250
; %bb.249:                              ;   in Loop: Header=BB4_231 Depth=1
	flat_load_dword v0, v[32:33] offset:4 glc
	s_waitcnt vmcnt(0) lgkmcnt(0)
	v_ashrrev_i32_e32 v1, 31, v0
	v_lshrrev_b64 v[8:9], 1, v[0:1]
.LBB4_250:                              ;   in Loop: Header=BB4_231 Depth=1
	s_or_b64 exec, exec, s[60:61]
	s_orn2_b64 s[18:19], vcc, exec
.LBB4_251:                              ;   in Loop: Header=BB4_231 Depth=1
	s_or_b64 exec, exec, s[58:59]
	s_and_saveexec_b64 s[58:59], s[18:19]
	s_cbranch_execz .LBB4_253
; %bb.252:                              ;   in Loop: Header=BB4_231 Depth=1
	buffer_load_dword v0, off, s[0:3], s33 offset:68 ; 4-byte Folded Reload
	s_waitcnt vmcnt(0)
	v_mad_i64_i32 v[8:9], s[18:19], v2, v0, 0
.LBB4_253:                              ;   in Loop: Header=BB4_231 Depth=1
	s_or_b64 exec, exec, s[58:59]
	v_lshlrev_b64 v[0:1], 1, v[8:9]
	s_waitcnt vmcnt(0)
	v_add_co_u32_e32 v0, vcc, v14, v0
	v_addc_co_u32_e32 v1, vcc, v15, v1, vcc
	ds_write_b64 v0, v[0:1] offset:728
	v_and_b32_e32 v0, 0x2000, v53
	v_cmp_ne_u32_e32 vcc, 0, v0
	s_and_saveexec_b64 s[18:19], vcc
	s_cbranch_execz .LBB4_255
; %bb.254:                              ;   in Loop: Header=BB4_231 Depth=1
	ds_read_b64 v[0:1], v0 offset:872
	s_waitcnt lgkmcnt(0)
	v_add_co_u32_e32 v0, vcc, 1, v0
	v_addc_co_u32_e32 v1, vcc, 0, v1, vcc
	ds_write_b64 v0, v[0:1] offset:872
.LBB4_255:                              ;   in Loop: Header=BB4_231 Depth=1
	s_or_b64 exec, exec, s[18:19]
	v_mov_b32_e32 v8, v29
	v_mov_b32_e32 v9, v30
.LBB4_256:                              ;   in Loop: Header=BB4_231 Depth=1
	s_or_b64 exec, exec, s[56:57]
	s_and_saveexec_b64 s[18:19], s[10:11]
	s_cbranch_execz .LBB4_275
; %bb.257:                              ;   in Loop: Header=BB4_231 Depth=1
	s_and_saveexec_b64 s[56:57], s[28:29]
	s_xor_b64 s[56:57], exec, s[56:57]
	s_cbranch_execz .LBB4_272
; %bb.258:                              ;   in Loop: Header=BB4_231 Depth=1
	s_and_saveexec_b64 s[58:59], s[12:13]
	s_cbranch_execz .LBB4_271
; %bb.259:                              ;   in Loop: Header=BB4_231 Depth=1
	s_mov_b64 s[62:63], exec
	v_mbcnt_lo_u32_b32 v0, s62, 0
	v_mbcnt_hi_u32_b32 v0, s63, v0
	v_cmp_eq_u32_e32 vcc, 0, v0
	s_waitcnt vmcnt(0) lgkmcnt(0)
	buffer_wbinvl1_vol
	s_and_saveexec_b64 s[60:61], vcc
	s_cbranch_execz .LBB4_261
; %bb.260:                              ;   in Loop: Header=BB4_231 Depth=1
	s_bcnt1_i32_b64 s62, s[62:63]
	v_mov_b32_e32 v10, s62
	ds_add_u64 v0, v[10:11]
	s_trap 2
.LBB4_261:                              ;   in Loop: Header=BB4_231 Depth=1
	s_or_b64 exec, exec, s[60:61]
	s_trap 2
	ds_read_b64 v[0:1], v0
	s_waitcnt lgkmcnt(0)
	v_add_co_u32_e32 v20, vcc, v20, v48
	v_addc_co_u32_e32 v21, vcc, 0, v21, vcc
	v_cmp_lt_u64_e32 vcc, v[0:1], v[20:21]
	s_and_saveexec_b64 s[60:61], vcc
	s_cbranch_execz .LBB4_270
; %bb.262:                              ;   in Loop: Header=BB4_231 Depth=1
	s_mov_b32 s90, 0
	s_mov_b64 s[62:63], 0
                                        ; implicit-def: $sgpr72_sgpr73
                                        ; implicit-def: $sgpr74_sgpr75
	s_branch .LBB4_264
.LBB4_263:                              ;   in Loop: Header=BB4_264 Depth=2
	s_or_b64 exec, exec, s[78:79]
	s_and_b64 s[76:77], exec, s[88:89]
	s_or_b64 s[62:63], s[76:77], s[62:63]
	s_andn2_b64 s[72:73], s[72:73], exec
	s_and_b64 s[76:77], s[74:75], exec
	s_or_b64 s[72:73], s[72:73], s[76:77]
	s_andn2_b64 exec, exec, s[62:63]
	s_cbranch_execz .LBB4_268
.LBB4_264:                              ;   Parent Loop BB4_231 Depth=1
                                        ; =>  This Inner Loop Header: Depth=2
	s_add_i32 s90, s90, 1
	s_cmpk_lg_i32 s90, 0x2710
	s_cselect_b64 s[76:77], -1, 0
	s_and_b64 vcc, exec, s[76:77]
	s_cbranch_vccz .LBB4_266
; %bb.265:                              ;   in Loop: Header=BB4_264 Depth=2
	s_mov_b64 s[88:89], -1
	s_or_b64 s[74:75], s[74:75], exec
	s_and_saveexec_b64 s[78:79], s[76:77]
	s_cbranch_execz .LBB4_263
	s_branch .LBB4_267
.LBB4_266:                              ;   in Loop: Header=BB4_264 Depth=2
	s_trap 2
	ds_read_b64 v[0:1], v0
	s_andn2_b64 s[76:77], s[76:77], exec
	s_mov_b32 s90, 0
	s_waitcnt lgkmcnt(0)
	flat_load_dword v0, v[0:1] glc
	s_waitcnt vmcnt(0) lgkmcnt(0)
	buffer_wbinvl1_vol
	v_cmp_eq_u32_e32 vcc, 0, v0
	s_and_b64 s[78:79], vcc, exec
	s_or_b64 s[76:77], s[76:77], s[78:79]
	s_mov_b64 s[88:89], -1
	s_or_b64 s[74:75], s[74:75], exec
	s_and_saveexec_b64 s[78:79], s[76:77]
	s_cbranch_execz .LBB4_263
.LBB4_267:                              ;   in Loop: Header=BB4_264 Depth=2
	s_sleep 1
	s_trap 2
	ds_read_b64 v[0:1], v0
	s_waitcnt lgkmcnt(0)
	s_andn2_b64 s[74:75], s[74:75], exec
	v_cmp_ge_u64_e32 vcc, v[0:1], v[20:21]
	s_orn2_b64 s[88:89], vcc, exec
	s_branch .LBB4_263
.LBB4_268:                              ;   in Loop: Header=BB4_231 Depth=1
	s_or_b64 exec, exec, s[62:63]
	s_and_saveexec_b64 s[62:63], s[72:73]
	s_xor_b64 s[62:63], exec, s[62:63]
	s_cbranch_execz .LBB4_270
; %bb.269:                              ;   in Loop: Header=BB4_231 Depth=1
	ds_write_b32 v0, v61
	s_trap 2
.LBB4_270:                              ;   in Loop: Header=BB4_231 Depth=1
	s_or_b64 exec, exec, s[60:61]
	;;#ASMSTART
	s_wakeup
	;;#ASMEND
.LBB4_271:                              ;   in Loop: Header=BB4_231 Depth=1
	s_or_b64 exec, exec, s[58:59]
.LBB4_272:                              ;   in Loop: Header=BB4_231 Depth=1
	s_andn2_saveexec_b64 s[56:57], s[56:57]
	s_cbranch_execz .LBB4_274
; %bb.273:                              ;   in Loop: Header=BB4_231 Depth=1
	s_waitcnt vmcnt(0) lgkmcnt(0)
	buffer_wbinvl1_vol
	s_barrier
.LBB4_274:                              ;   in Loop: Header=BB4_231 Depth=1
	s_or_b64 exec, exec, s[56:57]
.LBB4_275:                              ;   in Loop: Header=BB4_231 Depth=1
	s_or_b64 exec, exec, s[18:19]
	s_trap 2
	ds_read_b32 v34, v0
	v_and_b32_e32 v0, 0x4000, v53
	v_cmp_ne_u32_e32 vcc, 0, v0
	s_and_b64 s[56:57], s[42:43], vcc
	s_and_saveexec_b64 s[18:19], s[56:57]
	s_cbranch_execz .LBB4_294
; %bb.276:                              ;   in Loop: Header=BB4_231 Depth=1
	s_and_saveexec_b64 s[56:57], s[28:29]
	s_xor_b64 s[56:57], exec, s[56:57]
	s_cbranch_execz .LBB4_291
; %bb.277:                              ;   in Loop: Header=BB4_231 Depth=1
	s_and_saveexec_b64 s[58:59], s[12:13]
	s_cbranch_execz .LBB4_290
; %bb.278:                              ;   in Loop: Header=BB4_231 Depth=1
	s_mov_b64 s[62:63], exec
	v_mbcnt_lo_u32_b32 v0, s62, 0
	v_mbcnt_hi_u32_b32 v0, s63, v0
	v_cmp_eq_u32_e32 vcc, 0, v0
	s_waitcnt vmcnt(0) lgkmcnt(0)
	buffer_wbinvl1_vol
	s_and_saveexec_b64 s[60:61], vcc
	s_cbranch_execz .LBB4_280
; %bb.279:                              ;   in Loop: Header=BB4_231 Depth=1
	s_bcnt1_i32_b64 s62, s[62:63]
	v_mov_b32_e32 v10, s62
	ds_add_u64 v0, v[10:11]
	s_trap 2
.LBB4_280:                              ;   in Loop: Header=BB4_231 Depth=1
	s_or_b64 exec, exec, s[60:61]
	s_trap 2
	ds_read_b64 v[0:1], v0
	s_waitcnt lgkmcnt(0)
	v_add_co_u32_e32 v20, vcc, v20, v48
	v_addc_co_u32_e32 v21, vcc, 0, v21, vcc
	v_cmp_lt_u64_e32 vcc, v[0:1], v[20:21]
	s_and_saveexec_b64 s[60:61], vcc
	s_cbranch_execz .LBB4_289
; %bb.281:                              ;   in Loop: Header=BB4_231 Depth=1
	s_mov_b32 s90, 0
	s_mov_b64 s[62:63], 0
                                        ; implicit-def: $sgpr72_sgpr73
                                        ; implicit-def: $sgpr74_sgpr75
	s_branch .LBB4_283
.LBB4_282:                              ;   in Loop: Header=BB4_283 Depth=2
	s_or_b64 exec, exec, s[78:79]
	s_and_b64 s[76:77], exec, s[88:89]
	s_or_b64 s[62:63], s[76:77], s[62:63]
	s_andn2_b64 s[72:73], s[72:73], exec
	s_and_b64 s[76:77], s[74:75], exec
	s_or_b64 s[72:73], s[72:73], s[76:77]
	s_andn2_b64 exec, exec, s[62:63]
	s_cbranch_execz .LBB4_287
.LBB4_283:                              ;   Parent Loop BB4_231 Depth=1
                                        ; =>  This Inner Loop Header: Depth=2
	s_add_i32 s90, s90, 1
	s_cmpk_lg_i32 s90, 0x2710
	s_cselect_b64 s[76:77], -1, 0
	s_and_b64 vcc, exec, s[76:77]
	s_cbranch_vccz .LBB4_285
; %bb.284:                              ;   in Loop: Header=BB4_283 Depth=2
	s_mov_b64 s[88:89], -1
	s_or_b64 s[74:75], s[74:75], exec
	s_and_saveexec_b64 s[78:79], s[76:77]
	s_cbranch_execz .LBB4_282
	s_branch .LBB4_286
.LBB4_285:                              ;   in Loop: Header=BB4_283 Depth=2
	s_trap 2
	ds_read_b64 v[0:1], v0
	s_andn2_b64 s[76:77], s[76:77], exec
	s_mov_b32 s90, 0
	s_waitcnt lgkmcnt(0)
	flat_load_dword v0, v[0:1] glc
	s_waitcnt vmcnt(0) lgkmcnt(0)
	buffer_wbinvl1_vol
	v_cmp_eq_u32_e32 vcc, 0, v0
	s_and_b64 s[78:79], vcc, exec
	s_or_b64 s[76:77], s[76:77], s[78:79]
	s_mov_b64 s[88:89], -1
	s_or_b64 s[74:75], s[74:75], exec
	s_and_saveexec_b64 s[78:79], s[76:77]
	s_cbranch_execz .LBB4_282
.LBB4_286:                              ;   in Loop: Header=BB4_283 Depth=2
	s_sleep 1
	s_trap 2
	ds_read_b64 v[0:1], v0
	s_waitcnt lgkmcnt(0)
	s_andn2_b64 s[74:75], s[74:75], exec
	v_cmp_ge_u64_e32 vcc, v[0:1], v[20:21]
	s_orn2_b64 s[88:89], vcc, exec
	s_branch .LBB4_282
.LBB4_287:                              ;   in Loop: Header=BB4_231 Depth=1
	s_or_b64 exec, exec, s[62:63]
	s_and_saveexec_b64 s[62:63], s[72:73]
	s_xor_b64 s[62:63], exec, s[62:63]
	s_cbranch_execz .LBB4_289
; %bb.288:                              ;   in Loop: Header=BB4_231 Depth=1
	ds_write_b32 v0, v61
	s_trap 2
.LBB4_289:                              ;   in Loop: Header=BB4_231 Depth=1
	s_or_b64 exec, exec, s[60:61]
	;;#ASMSTART
	s_wakeup
	;;#ASMEND
.LBB4_290:                              ;   in Loop: Header=BB4_231 Depth=1
	s_or_b64 exec, exec, s[58:59]
.LBB4_291:                              ;   in Loop: Header=BB4_231 Depth=1
	s_andn2_saveexec_b64 s[56:57], s[56:57]
	s_cbranch_execz .LBB4_293
; %bb.292:                              ;   in Loop: Header=BB4_231 Depth=1
	s_waitcnt vmcnt(0) lgkmcnt(0)
	buffer_wbinvl1_vol
	s_barrier
.LBB4_293:                              ;   in Loop: Header=BB4_231 Depth=1
	s_or_b64 exec, exec, s[56:57]
.LBB4_294:                              ;   in Loop: Header=BB4_231 Depth=1
	s_or_b64 exec, exec, s[18:19]
	s_trap 2
	ds_read_b64 v[29:30], v0
	v_min_u32_e32 v44, v44, v28
	s_waitcnt lgkmcnt(0)
	v_cmp_eq_u64_e32 vcc, 0, v[29:30]
	s_cbranch_vccnz .LBB4_302
; %bb.295:                              ;   in Loop: Header=BB4_231 Depth=1
	s_trap 2
	ds_read_b64 v[32:33], v0
	s_waitcnt lgkmcnt(0)
	v_cmp_eq_u64_e32 vcc, 0, v[32:33]
	s_cbranch_vccnz .LBB4_302
; %bb.296:                              ;   in Loop: Header=BB4_231 Depth=1
	s_mov_b64 s[18:19], -1
	s_and_saveexec_b64 s[56:57], s[14:15]
	s_cbranch_execz .LBB4_298
; %bb.297:                              ;   in Loop: Header=BB4_231 Depth=1
	ds_read_b32 v0, v0 offset:720
	s_waitcnt lgkmcnt(0)
	v_and_b32_e32 v0, 15, v0
	v_cmp_eq_u32_e32 vcc, 0, v0
	s_orn2_b64 s[18:19], vcc, exec
.LBB4_298:                              ;   in Loop: Header=BB4_231 Depth=1
	s_or_b64 exec, exec, s[56:57]
	s_and_saveexec_b64 s[56:57], s[16:17]
	s_cbranch_execz .LBB4_300
; %bb.299:                              ;   in Loop: Header=BB4_231 Depth=1
	ds_read_b32 v0, v0 offset:784
	s_waitcnt lgkmcnt(0)
	v_and_b32_e32 v0, 15, v0
	v_cmp_eq_u32_e32 vcc, 0, v0
	s_and_b64 s[58:59], s[18:19], vcc
	s_andn2_b64 s[18:19], s[18:19], exec
	s_and_b64 s[58:59], s[58:59], exec
	s_or_b64 s[18:19], s[18:19], s[58:59]
.LBB4_300:                              ;   in Loop: Header=BB4_231 Depth=1
	s_or_b64 exec, exec, s[56:57]
	v_cmp_eq_u32_e32 vcc, 0, v34
	s_xor_b64 s[18:19], s[18:19], -1
	v_cndmask_b32_e32 v10, 0, v44, vcc
	v_cndmask_b32_e64 v0, 0, 1, s[18:19]
	v_lshlrev_b32_e32 v45, 1, v10
	s_mov_b64 s[58:59], -1
	v_cmp_ne_u32_e32 vcc, 0, v0
	v_mov_b32_e32 v46, 0
	s_cbranch_vccz .LBB4_303
; %bb.301:                              ;   in Loop: Header=BB4_231 Depth=1
	v_mov_b32_e32 v47, v54
	v_mov_b32_e32 v3, v31
	s_and_saveexec_b64 s[18:19], s[58:59]
	s_cbranch_execnz .LBB4_316
	s_branch .LBB4_324
.LBB4_302:                              ;   in Loop: Header=BB4_231 Depth=1
	s_mov_b64 s[18:19], 0
	s_and_saveexec_b64 s[56:57], s[10:11]
	s_cbranch_execnz .LBB4_325
	s_branch .LBB4_343
.LBB4_303:                              ;   in Loop: Header=BB4_231 Depth=1
	v_lshrrev_b32_e32 v46, 10, v10
	v_sub_u32_e32 v57, v46, v31
	v_cmp_lt_i32_e32 vcc, 0, v57
	s_and_saveexec_b64 s[18:19], vcc
	s_cbranch_execz .LBB4_307
; %bb.304:                              ;   in Loop: Header=BB4_231 Depth=1
	s_trap 2
	ds_read_b64 v[0:1], v0
	v_add_co_u32_e32 v34, vcc, v29, v62
	v_ashrrev_i32_e32 v2, 31, v62
	v_addc_co_u32_e32 v35, vcc, v30, v2, vcc
	s_waitcnt lgkmcnt(0)
	v_add_co_u32_e32 v36, vcc, v0, v62
	v_addc_co_u32_e32 v37, vcc, v1, v2, vcc
	v_add_co_u32_e32 v38, vcc, v32, v62
	v_addc_co_u32_e32 v39, vcc, v33, v2, vcc
	s_mov_b64 s[56:57], 0
.LBB4_305:                              ;   Parent Loop BB4_231 Depth=1
                                        ; =>  This Inner Loop Header: Depth=2
	global_load_dwordx4 v[12:15], v[36:37], off glc slc
	global_load_dwordx4 v[58:61], v[34:35], off glc slc
	global_load_dwordx4 v[49:52], v[34:35], off offset:1024 glc slc
	global_load_dwordx4 v[0:3], v[36:37], off offset:1024 glc slc
	v_add_co_u32_e32 v34, vcc, v34, v40
	v_addc_co_u32_e32 v35, vcc, 0, v35, vcc
	v_add_co_u32_e32 v36, vcc, v36, v40
	v_addc_co_u32_e32 v37, vcc, 0, v37, vcc
	v_sub_u32_e32 v57, v57, v48
	v_cmp_gt_i32_e32 vcc, 1, v57
	s_or_b64 s[56:57], vcc, s[56:57]
	s_waitcnt vmcnt(0)
	v_add_f16_e32 v47, v58, v12
	v_add_f16_sdwa v12, v58, v12 dst_sel:WORD_1 dst_unused:UNUSED_PAD src0_sel:WORD_1 src1_sel:WORD_1
	v_add_f16_e32 v56, v59, v13
	v_add_f16_sdwa v13, v59, v13 dst_sel:WORD_1 dst_unused:UNUSED_PAD src0_sel:WORD_1 src1_sel:WORD_1
	;; [unrolled: 2-line block ×4, first 2 shown]
	s_waitcnt vmcnt(0)
	v_add_f16_e32 v60, v49, v0
	v_add_f16_sdwa v49, v49, v0 dst_sel:WORD_1 dst_unused:UNUSED_PAD src0_sel:WORD_1 src1_sel:WORD_1
	v_add_f16_e32 v61, v50, v1
	v_add_f16_sdwa v50, v50, v1 dst_sel:WORD_1 dst_unused:UNUSED_PAD src0_sel:WORD_1 src1_sel:WORD_1
	;; [unrolled: 2-line block ×4, first 2 shown]
	v_or_b32_e32 v1, v13, v56
	v_or_b32_e32 v0, v12, v47
	;; [unrolled: 1-line block ×8, first 2 shown]
	global_store_dwordx4 v[38:39], v[0:3], off glc slc
	global_store_dwordx4 v[38:39], v[12:15], off offset:1024 glc slc
	v_add_co_u32_e32 v38, vcc, v38, v40
	v_addc_co_u32_e32 v39, vcc, 0, v39, vcc
	s_andn2_b64 exec, exec, s[56:57]
	s_cbranch_execnz .LBB4_305
; %bb.306:                              ;   in Loop: Header=BB4_231 Depth=1
	s_or_b64 exec, exec, s[56:57]
	buffer_load_dword v14, off, s[0:3], s33 offset:60 ; 4-byte Folded Reload
	buffer_load_dword v15, off, s[0:3], s33 offset:64 ; 4-byte Folded Reload
	v_mov_b32_e32 v61, 1
.LBB4_307:                              ;   in Loop: Header=BB4_231 Depth=1
	s_or_b64 exec, exec, s[18:19]
	v_lshlrev_b32_e32 v56, 11, v46
	v_cmp_ne_u32_e32 vcc, v45, v56
	s_mov_b64 s[58:59], 0
	v_mov_b32_e32 v46, 0
                                        ; implicit-def: $vgpr47
                                        ; implicit-def: $vgpr3
	s_and_saveexec_b64 s[56:57], vcc
	s_cbranch_execz .LBB4_315
; %bb.308:                              ;   in Loop: Header=BB4_231 Depth=1
	buffer_load_dword v2, off, s[0:3], s33 offset:72 ; 4-byte Folded Reload
	v_lshlrev_b32_e32 v1, 6, v57
	v_sub_u32_e32 v0, v45, v56
	s_waitcnt vmcnt(0)
	v_sub_u32_e32 v1, v2, v1
	v_ashrrev_i32_e32 v2, 31, v1
	v_lshrrev_b32_e32 v2, 26, v2
	v_add_u32_e32 v2, v1, v2
	v_ashrrev_i32_e32 v12, 6, v2
	v_and_b32_e32 v2, 0xffffffc0, v2
	v_sub_u32_e32 v57, v1, v2
	v_lshlrev_b32_e32 v1, 4, v57
	v_lshl_add_u32 v34, v12, 10, v1
	v_ashrrev_i32_e32 v1, 31, v0
	v_lshrrev_b32_e32 v1, 22, v1
	v_add_u32_e32 v1, v0, v1
	v_and_b32_e32 v58, 0xfffffc00, v1
	v_sub_u32_e32 v2, v0, v58
	v_ashrrev_i32_e32 v13, 10, v1
	v_cmp_lt_i32_e32 vcc, 15, v2
	v_sub_u32_e32 v3, v0, v34
	v_addc_co_u32_e64 v0, s[18:19], 0, v13, vcc
	v_sub_u32_e32 v59, v0, v12
	v_cmp_lt_i32_e64 s[18:19], 15, v3
	s_and_saveexec_b64 s[58:59], s[18:19]
	s_cbranch_execz .LBB4_312
; %bb.309:                              ;   in Loop: Header=BB4_231 Depth=1
	s_trap 2
	ds_read_b64 v[0:1], v0
	v_add_u32_e32 v12, v34, v56
	v_ashrrev_i32_e32 v13, 31, v12
	v_add_co_u32_e64 v34, s[18:19], v12, v29
	v_addc_co_u32_e64 v35, s[18:19], v13, v30, s[18:19]
	s_waitcnt lgkmcnt(0)
	v_add_co_u32_e64 v36, s[18:19], v0, v12
	v_addc_co_u32_e64 v37, s[18:19], v1, v13, s[18:19]
	v_add_co_u32_e64 v38, s[18:19], v12, v32
	v_addc_co_u32_e64 v39, s[18:19], v13, v33, s[18:19]
	s_mov_b64 s[60:61], 0
.LBB4_310:                              ;   Parent Loop BB4_231 Depth=1
                                        ; =>  This Inner Loop Header: Depth=2
	global_load_dwordx4 v[12:15], v[34:35], off glc slc
	global_load_dwordx4 v[49:52], v[36:37], off glc slc
	v_add_co_u32_e64 v34, s[18:19], v34, v41
	v_addc_co_u32_e64 v35, s[18:19], 0, v35, s[18:19]
	v_add_co_u32_e64 v36, s[18:19], v36, v41
	v_addc_co_u32_e64 v37, s[18:19], 0, v37, s[18:19]
	v_sub_u32_e32 v3, v3, v41
	v_cmp_gt_i32_e64 s[18:19], 16, v3
	s_or_b64 s[60:61], s[18:19], s[60:61]
	v_sub_u32_e32 v59, v59, v48
	s_waitcnt vmcnt(0)
	v_add_f16_e32 v0, v12, v49
	v_add_f16_sdwa v1, v12, v49 dst_sel:WORD_1 dst_unused:UNUSED_PAD src0_sel:WORD_1 src1_sel:WORD_1
	v_add_f16_e32 v12, v13, v50
	v_add_f16_sdwa v13, v13, v50 dst_sel:WORD_1 dst_unused:UNUSED_PAD src0_sel:WORD_1 src1_sel:WORD_1
	;; [unrolled: 2-line block ×4, first 2 shown]
	v_or_b32_e32 v13, v13, v12
	v_or_b32_e32 v12, v1, v0
	;; [unrolled: 1-line block ×4, first 2 shown]
	global_store_dwordx4 v[38:39], v[12:15], off glc slc
	v_add_co_u32_e64 v38, s[18:19], v38, v41
	v_addc_co_u32_e64 v39, s[18:19], 0, v39, s[18:19]
	s_andn2_b64 exec, exec, s[60:61]
	s_cbranch_execnz .LBB4_310
; %bb.311:                              ;   in Loop: Header=BB4_231 Depth=1
	s_or_b64 exec, exec, s[60:61]
	buffer_load_dword v14, off, s[0:3], s33 offset:60 ; 4-byte Folded Reload
	buffer_load_dword v15, off, s[0:3], s33 offset:64 ; 4-byte Folded Reload
.LBB4_312:                              ;   in Loop: Header=BB4_231 Depth=1
	s_or_b64 exec, exec, s[58:59]
	v_and_b32_e32 v34, 14, v45
	v_cndmask_b32_e32 v45, v2, v34, vcc
	v_mov_b32_e32 v46, 0
	v_cmp_ne_u32_e64 s[18:19], 0, v45
	s_mov_b64 s[58:59], 0
                                        ; implicit-def: $vgpr47
                                        ; implicit-def: $vgpr3
	s_and_saveexec_b64 s[60:61], s[18:19]
	s_cbranch_execz .LBB4_314
; %bb.313:                              ;   in Loop: Header=BB4_231 Depth=1
	v_sub_u32_e32 v0, v2, v34
	v_cndmask_b32_e32 v0, 0, v0, vcc
	v_cmp_lt_i32_e32 vcc, 0, v59
	v_add3_u32 v46, v58, v56, v0
	v_cndmask_b32_e32 v0, 0, v48, vcc
	v_sub_u32_e32 v0, v0, v59
	v_lshl_add_u32 v47, v0, 6, v57
	v_ashrrev_i32_e32 v0, 31, v47
	v_lshrrev_b32_e32 v0, 26, v0
	v_add_u32_e32 v0, v47, v0
	s_mov_b64 s[58:59], exec
	v_ashrrev_i32_e32 v3, 6, v0
.LBB4_314:                              ;   in Loop: Header=BB4_231 Depth=1
	s_or_b64 exec, exec, s[60:61]
	s_and_b64 s[58:59], s[58:59], exec
.LBB4_315:                              ;   in Loop: Header=BB4_231 Depth=1
	s_or_b64 exec, exec, s[56:57]
	s_and_saveexec_b64 s[18:19], s[58:59]
	s_cbranch_execz .LBB4_324
.LBB4_316:                              ;   in Loop: Header=BB4_231 Depth=1
	v_ashrrev_i32_e32 v0, 31, v45
	v_lshrrev_b32_e32 v0, 22, v0
	v_add_u32_e32 v0, v45, v0
	v_ashrrev_i32_e32 v58, 10, v0
	v_sub_u32_e32 v56, v58, v3
	v_ashrrev_i32_e32 v0, 31, v47
	v_cmp_lt_i32_e32 vcc, 0, v56
	v_lshrrev_b32_e32 v57, 26, v0
	s_and_saveexec_b64 s[56:57], vcc
	s_cbranch_execz .LBB4_320
; %bb.317:                              ;   in Loop: Header=BB4_231 Depth=1
	v_add_u32_e32 v0, v47, v57
	v_and_b32_e32 v0, 0x7fffffc0, v0
	v_sub_u32_e32 v0, v47, v0
	v_lshlrev_b32_e32 v0, 1, v0
	v_lshlrev_b32_e32 v1, 10, v3
	v_add3_u32 v2, v0, v46, v1
	s_trap 2
	ds_read_b64 v[0:1], v0
	v_ashrrev_i32_e32 v3, 31, v2
	v_add_co_u32_e32 v34, vcc, v2, v29
	v_addc_co_u32_e32 v35, vcc, v3, v30, vcc
	s_waitcnt lgkmcnt(0)
	v_add_co_u32_e32 v36, vcc, v0, v2
	v_addc_co_u32_e32 v37, vcc, v1, v3, vcc
	v_add_co_u32_e32 v0, vcc, 0x380, v32
	v_addc_co_u32_e32 v1, vcc, 0, v33, vcc
	;; [unrolled: 2-line block ×3, first 2 shown]
	s_mov_b64 s[58:59], 0
.LBB4_318:                              ;   Parent Loop BB4_231 Depth=1
                                        ; =>  This Inner Loop Header: Depth=2
	flat_load_ushort v0, v[34:35] glc slc
	flat_load_ushort v1, v[34:35] offset:128 glc slc
	flat_load_ushort v2, v[34:35] offset:256 glc slc
	flat_load_ushort v3, v[34:35] offset:384 glc slc
	flat_load_ushort v12, v[34:35] offset:512 glc slc
	flat_load_ushort v13, v[34:35] offset:640 glc slc
	s_waitcnt vmcnt(0)
	flat_load_ushort v14, v[34:35] offset:768 glc slc
	flat_load_ushort v15, v[34:35] offset:896 glc slc
	flat_load_ushort v49, v[36:37] glc slc
	flat_load_ushort v50, v[36:37] offset:128 glc slc
	flat_load_ushort v51, v[36:37] offset:256 glc slc
	;; [unrolled: 1-line block ×7, first 2 shown]
	v_sub_u32_e32 v56, v56, v48
	s_waitcnt vmcnt(0) lgkmcnt(0)
	v_add_f16_e32 v49, v0, v49
	v_add_co_u32_e32 v0, vcc, s95, v38
	v_add_f16_e32 v50, v1, v50
	v_addc_co_u32_e32 v1, vcc, -1, v39, vcc
	flat_store_short v[0:1], v49 glc slc
	v_add_co_u32_e32 v0, vcc, s31, v38
	v_addc_co_u32_e32 v1, vcc, -1, v39, vcc
	flat_store_short v[0:1], v50 glc slc
	v_add_co_u32_e32 v0, vcc, s34, v38
	v_add_f16_e32 v2, v2, v51
	v_addc_co_u32_e32 v1, vcc, -1, v39, vcc
	flat_store_short v[0:1], v2 glc slc
	v_add_co_u32_e32 v0, vcc, s35, v38
	v_add_f16_e32 v3, v3, v52
	;; [unrolled: 4-line block ×4, first 2 shown]
	v_addc_co_u32_e32 v1, vcc, -1, v39, vcc
	flat_store_short v[0:1], v13 glc slc
	v_add_co_u32_e32 v0, vcc, s38, v38
	v_addc_co_u32_e32 v1, vcc, -1, v39, vcc
	v_add_co_u32_e32 v34, vcc, v34, v41
	v_addc_co_u32_e32 v35, vcc, 0, v35, vcc
	v_add_co_u32_e32 v36, vcc, v36, v41
	v_add_f16_e32 v14, v14, v59
	v_addc_co_u32_e32 v37, vcc, 0, v37, vcc
	v_add_f16_e32 v15, v15, v60
	flat_store_short v[0:1], v14 glc slc
	flat_store_short v[38:39], v15 glc slc
	v_add_co_u32_e32 v38, vcc, v38, v41
	v_addc_co_u32_e32 v39, vcc, 0, v39, vcc
	v_cmp_gt_i32_e32 vcc, 1, v56
	s_or_b64 s[58:59], vcc, s[58:59]
	s_andn2_b64 exec, exec, s[58:59]
	s_cbranch_execnz .LBB4_318
; %bb.319:                              ;   in Loop: Header=BB4_231 Depth=1
	s_or_b64 exec, exec, s[58:59]
	buffer_load_dword v14, off, s[0:3], s33 offset:60 ; 4-byte Folded Reload
	buffer_load_dword v15, off, s[0:3], s33 offset:64 ; 4-byte Folded Reload
.LBB4_320:                              ;   in Loop: Header=BB4_231 Depth=1
	s_or_b64 exec, exec, s[56:57]
	v_lshlrev_b32_e32 v2, 10, v58
	v_cmp_ne_u32_e32 vcc, v45, v2
	s_and_b64 exec, exec, vcc
	s_cbranch_execz .LBB4_324
; %bb.321:                              ;   in Loop: Header=BB4_231 Depth=1
	v_add_u32_e32 v0, v47, v57
	v_and_b32_e32 v0, 0xffffffc0, v0
	v_sub_u32_e32 v0, v47, v0
	v_lshlrev_b32_e32 v1, 6, v56
	v_sub_u32_e32 v0, v0, v1
	v_ashrrev_i32_e32 v1, 31, v0
	v_lshrrev_b32_e32 v1, 26, v1
	v_add_u32_e32 v1, v0, v1
	v_and_b32_e32 v3, 0x7fffffc0, v1
	v_sub_u32_e32 v0, v0, v3
	v_lshlrev_b32_e32 v1, 1, v1
	v_and_b32_e32 v1, 0xffffff80, v1
	v_lshlrev_b32_e32 v0, 1, v0
	v_add3_u32 v3, v1, v0, v2
	v_sub_u32_e32 v2, v45, v3
	v_cmp_lt_i32_e32 vcc, 1, v2
	s_and_b64 exec, exec, vcc
	s_cbranch_execz .LBB4_324
; %bb.322:                              ;   in Loop: Header=BB4_231 Depth=1
	s_trap 2
	ds_read_b64 v[0:1], v0
	v_add_u32_e32 v3, v3, v46
	v_ashrrev_i32_e32 v12, 31, v3
	v_add_co_u32_e32 v29, vcc, v3, v29
	v_addc_co_u32_e32 v30, vcc, v12, v30, vcc
	s_waitcnt lgkmcnt(0)
	v_add_co_u32_e32 v34, vcc, v0, v3
	v_addc_co_u32_e32 v35, vcc, v1, v12, vcc
	v_add_co_u32_e32 v32, vcc, v3, v32
	v_addc_co_u32_e32 v33, vcc, v12, v33, vcc
	s_mov_b64 s[56:57], 0
.LBB4_323:                              ;   Parent Loop BB4_231 Depth=1
                                        ; =>  This Inner Loop Header: Depth=2
	flat_load_ushort v0, v[29:30] glc slc
	flat_load_ushort v1, v[34:35] glc slc
	v_add_co_u32_e32 v29, vcc, v29, v42
	v_addc_co_u32_e32 v30, vcc, 0, v30, vcc
	v_add_co_u32_e32 v34, vcc, v34, v42
	v_addc_co_u32_e32 v35, vcc, 0, v35, vcc
	v_sub_u32_e32 v2, v2, v42
	v_cmp_gt_i32_e32 vcc, 2, v2
	s_or_b64 s[56:57], vcc, s[56:57]
	s_waitcnt vmcnt(0) lgkmcnt(0)
	v_add_f16_e32 v0, v0, v1
	flat_store_short v[32:33], v0 glc slc
	v_add_co_u32_e32 v32, vcc, v32, v42
	v_addc_co_u32_e32 v33, vcc, 0, v33, vcc
	s_andn2_b64 exec, exec, s[56:57]
	s_cbranch_execnz .LBB4_323
.LBB4_324:                              ;   in Loop: Header=BB4_231 Depth=1
	s_or_b64 exec, exec, s[18:19]
	v_cmp_ne_u32_e64 s[18:19], 0, v10
	s_and_saveexec_b64 s[56:57], s[10:11]
	s_cbranch_execz .LBB4_343
.LBB4_325:                              ;   in Loop: Header=BB4_231 Depth=1
	s_and_saveexec_b64 s[58:59], s[28:29]
	s_xor_b64 s[58:59], exec, s[58:59]
	s_cbranch_execz .LBB4_340
; %bb.326:                              ;   in Loop: Header=BB4_231 Depth=1
	s_and_saveexec_b64 s[60:61], s[12:13]
	s_cbranch_execz .LBB4_339
; %bb.327:                              ;   in Loop: Header=BB4_231 Depth=1
	s_mov_b64 s[72:73], exec
	v_mbcnt_lo_u32_b32 v0, s72, 0
	v_mbcnt_hi_u32_b32 v0, s73, v0
	v_cmp_eq_u32_e32 vcc, 0, v0
	s_waitcnt vmcnt(0) lgkmcnt(0)
	buffer_wbinvl1_vol
	s_and_saveexec_b64 s[62:63], vcc
	s_cbranch_execz .LBB4_329
; %bb.328:                              ;   in Loop: Header=BB4_231 Depth=1
	s_bcnt1_i32_b64 s72, s[72:73]
	v_mov_b32_e32 v10, s72
	ds_add_u64 v0, v[10:11]
	s_trap 2
.LBB4_329:                              ;   in Loop: Header=BB4_231 Depth=1
	s_or_b64 exec, exec, s[62:63]
	s_trap 2
	ds_read_b64 v[0:1], v0
	s_waitcnt lgkmcnt(0)
	v_add_co_u32_e32 v20, vcc, v20, v48
	v_addc_co_u32_e32 v21, vcc, 0, v21, vcc
	v_cmp_lt_u64_e32 vcc, v[0:1], v[20:21]
	s_and_saveexec_b64 s[62:63], vcc
	s_cbranch_execz .LBB4_338
; %bb.330:                              ;   in Loop: Header=BB4_231 Depth=1
	s_mov_b32 s92, 0
	s_mov_b64 s[72:73], 0
                                        ; implicit-def: $sgpr74_sgpr75
                                        ; implicit-def: $sgpr76_sgpr77
	s_branch .LBB4_332
.LBB4_331:                              ;   in Loop: Header=BB4_332 Depth=2
	s_or_b64 exec, exec, s[88:89]
	s_and_b64 s[78:79], exec, s[90:91]
	s_or_b64 s[72:73], s[78:79], s[72:73]
	s_andn2_b64 s[74:75], s[74:75], exec
	s_and_b64 s[78:79], s[76:77], exec
	s_or_b64 s[74:75], s[74:75], s[78:79]
	s_andn2_b64 exec, exec, s[72:73]
	s_cbranch_execz .LBB4_336
.LBB4_332:                              ;   Parent Loop BB4_231 Depth=1
                                        ; =>  This Inner Loop Header: Depth=2
	s_add_i32 s92, s92, 1
	s_cmpk_lg_i32 s92, 0x2710
	s_cselect_b64 s[78:79], -1, 0
	s_and_b64 vcc, exec, s[78:79]
	s_cbranch_vccz .LBB4_334
; %bb.333:                              ;   in Loop: Header=BB4_332 Depth=2
	s_mov_b64 s[90:91], -1
	s_or_b64 s[76:77], s[76:77], exec
	s_and_saveexec_b64 s[88:89], s[78:79]
	s_cbranch_execz .LBB4_331
	s_branch .LBB4_335
.LBB4_334:                              ;   in Loop: Header=BB4_332 Depth=2
	s_trap 2
	ds_read_b64 v[0:1], v0
	s_andn2_b64 s[78:79], s[78:79], exec
	s_mov_b32 s92, 0
	s_waitcnt lgkmcnt(0)
	flat_load_dword v0, v[0:1] glc
	s_waitcnt vmcnt(0) lgkmcnt(0)
	buffer_wbinvl1_vol
	v_cmp_eq_u32_e32 vcc, 0, v0
	s_and_b64 s[88:89], vcc, exec
	s_or_b64 s[78:79], s[78:79], s[88:89]
	s_mov_b64 s[90:91], -1
	s_or_b64 s[76:77], s[76:77], exec
	s_and_saveexec_b64 s[88:89], s[78:79]
	s_cbranch_execz .LBB4_331
.LBB4_335:                              ;   in Loop: Header=BB4_332 Depth=2
	s_sleep 1
	s_trap 2
	ds_read_b64 v[0:1], v0
	s_waitcnt lgkmcnt(0)
	s_andn2_b64 s[76:77], s[76:77], exec
	v_cmp_ge_u64_e32 vcc, v[0:1], v[20:21]
	s_orn2_b64 s[90:91], vcc, exec
	s_branch .LBB4_331
.LBB4_336:                              ;   in Loop: Header=BB4_231 Depth=1
	s_or_b64 exec, exec, s[72:73]
	s_and_saveexec_b64 s[72:73], s[74:75]
	s_xor_b64 s[72:73], exec, s[72:73]
	s_cbranch_execz .LBB4_338
; %bb.337:                              ;   in Loop: Header=BB4_231 Depth=1
	ds_write_b32 v0, v61
	s_trap 2
.LBB4_338:                              ;   in Loop: Header=BB4_231 Depth=1
	s_or_b64 exec, exec, s[62:63]
	;;#ASMSTART
	s_wakeup
	;;#ASMEND
.LBB4_339:                              ;   in Loop: Header=BB4_231 Depth=1
	s_or_b64 exec, exec, s[60:61]
.LBB4_340:                              ;   in Loop: Header=BB4_231 Depth=1
	s_andn2_saveexec_b64 s[58:59], s[58:59]
	s_cbranch_execz .LBB4_342
; %bb.341:                              ;   in Loop: Header=BB4_231 Depth=1
	s_waitcnt vmcnt(0) lgkmcnt(0)
	buffer_wbinvl1_vol
	s_barrier
.LBB4_342:                              ;   in Loop: Header=BB4_231 Depth=1
	s_or_b64 exec, exec, s[58:59]
.LBB4_343:                              ;   in Loop: Header=BB4_231 Depth=1
	s_or_b64 exec, exec, s[56:57]
	v_and_b32_e32 v0, 16, v53
	v_cmp_ne_u32_e32 vcc, 0, v0
	s_and_b64 s[56:57], vcc, s[18:19]
	s_and_saveexec_b64 s[18:19], s[56:57]
	s_cbranch_execz .LBB4_345
; %bb.344:                              ;   in Loop: Header=BB4_231 Depth=1
	s_waitcnt vmcnt(0) lgkmcnt(0)
	buffer_wbinvl1_vol
.LBB4_345:                              ;   in Loop: Header=BB4_231 Depth=1
	s_or_b64 exec, exec, s[18:19]
	v_and_b32_e32 v0, 32, v53
	v_cmp_ne_u32_e32 vcc, 0, v0
	s_and_saveexec_b64 s[18:19], vcc
	s_cbranch_execz .LBB4_347
; %bb.346:                              ;   in Loop: Header=BB4_231 Depth=1
	v_add_co_u32_e32 v8, vcc, 1, v8
	v_addc_co_u32_e32 v9, vcc, 0, v9, vcc
	flat_store_dwordx2 v[18:19], v[8:9]
.LBB4_347:                              ;   in Loop: Header=BB4_231 Depth=1
	s_or_b64 exec, exec, s[18:19]
	v_mov_b32_e32 v34, v44
.LBB4_348:                              ;   in Loop: Header=BB4_231 Depth=1
	s_or_b64 exec, exec, s[46:47]
	s_and_saveexec_b64 s[46:47], s[44:45]
	s_cbranch_execz .LBB4_230
; %bb.349:                              ;   in Loop: Header=BB4_231 Depth=1
	v_and_b32_e32 v0, 4, v53
	v_cmp_ne_u32_e32 vcc, 0, v0
	s_and_saveexec_b64 s[44:45], vcc
	s_cbranch_execz .LBB4_371
; %bb.350:                              ;   in Loop: Header=BB4_231 Depth=1
	s_waitcnt lgkmcnt(0)
	v_add_co_u32_e32 v29, vcc, 1, v8
	v_addc_co_u32_e32 v30, vcc, 0, v9, vcc
	v_cmp_lt_u64_e32 vcc, v[22:23], v[29:30]
	s_and_saveexec_b64 s[56:57], vcc
	s_cbranch_execz .LBB4_362
; %bb.351:                              ;   in Loop: Header=BB4_231 Depth=1
	v_and_b32_e32 v0, 64, v53
	s_mov_b32 s92, 0
	v_cmp_eq_u32_e32 vcc, 0, v0
	s_mov_b64 s[58:59], 0
                                        ; implicit-def: $sgpr60_sgpr61
                                        ; implicit-def: $sgpr62_sgpr63
                                        ; implicit-def: $sgpr72_sgpr73
	s_branch .LBB4_355
.LBB4_352:                              ;   in Loop: Header=BB4_355 Depth=2
	s_waitcnt vmcnt(0) lgkmcnt(0)
	v_cmp_ge_u64_e64 s[18:19], v[22:23], v[29:30]
	s_or_b64 s[78:79], s[78:79], exec
	s_orn2_b64 s[76:77], s[18:19], exec
.LBB4_353:                              ;   in Loop: Header=BB4_355 Depth=2
	s_or_b64 exec, exec, s[90:91]
	s_andn2_b64 s[18:19], s[72:73], exec
	s_and_b64 s[72:73], s[78:79], exec
	s_or_b64 s[72:73], s[18:19], s[72:73]
	s_andn2_b64 s[18:19], s[62:63], exec
	s_and_b64 s[62:63], s[76:77], exec
	s_or_b64 s[62:63], s[18:19], s[62:63]
.LBB4_354:                              ;   in Loop: Header=BB4_355 Depth=2
	s_or_b64 exec, exec, s[74:75]
	s_and_b64 s[18:19], exec, s[62:63]
	s_or_b64 s[58:59], s[18:19], s[58:59]
	s_andn2_b64 s[18:19], s[60:61], exec
	s_and_b64 s[60:61], s[72:73], exec
	s_or_b64 s[60:61], s[18:19], s[60:61]
	s_andn2_b64 exec, exec, s[58:59]
	s_cbranch_execz .LBB4_359
.LBB4_355:                              ;   Parent Loop BB4_231 Depth=1
                                        ; =>  This Inner Loop Header: Depth=2
	s_sleep 1
	s_waitcnt vmcnt(0) lgkmcnt(0)
	flat_load_dwordx2 v[22:23], v[18:19] glc
	s_or_b64 s[72:73], s[72:73], exec
	s_or_b64 s[62:63], s[62:63], exec
                                        ; implicit-def: $vgpr2
	s_and_saveexec_b64 s[74:75], vcc
	s_cbranch_execz .LBB4_354
; %bb.356:                              ;   in Loop: Header=BB4_355 Depth=2
	s_cmpk_lt_i32 s92, 0x270f
	s_cselect_b64 s[88:89], -1, 0
	s_cmpk_gt_i32 s92, 0x270e
	s_mov_b64 s[76:77], -1
	s_cbranch_scc0 .LBB4_358
; %bb.357:                              ;   in Loop: Header=BB4_355 Depth=2
	s_trap 2
	ds_read_b64 v[0:1], v0
	s_andn2_b64 s[88:89], s[88:89], exec
	s_mov_b32 s92, 0
	s_mov_b64 s[78:79], 0
	s_waitcnt vmcnt(0) lgkmcnt(0)
	flat_load_dword v2, v[0:1] glc
	s_waitcnt vmcnt(0) lgkmcnt(0)
	buffer_wbinvl1_vol
	v_cmp_eq_u32_e64 s[18:19], 0, v2
	s_and_b64 s[18:19], s[18:19], exec
	s_or_b64 s[88:89], s[88:89], s[18:19]
	s_and_saveexec_b64 s[90:91], s[88:89]
	s_cbranch_execz .LBB4_353
	s_branch .LBB4_352
.LBB4_358:                              ;   in Loop: Header=BB4_355 Depth=2
	s_add_i32 s92, s92, 1
	s_mov_b64 s[78:79], -1
                                        ; implicit-def: $vgpr2
	s_and_saveexec_b64 s[90:91], s[88:89]
	s_cbranch_execz .LBB4_353
	s_branch .LBB4_352
.LBB4_359:                              ;   in Loop: Header=BB4_231 Depth=1
	s_or_b64 exec, exec, s[58:59]
	s_xor_b64 s[18:19], s[60:61], -1
	s_and_saveexec_b64 s[58:59], s[18:19]
	s_xor_b64 s[18:19], exec, s[58:59]
	s_cbranch_execz .LBB4_361
; %bb.360:                              ;   in Loop: Header=BB4_231 Depth=1
	v_or_b32_e32 v53, 64, v53
	s_waitcnt lgkmcnt(0)
	ds_write_b32 v0, v2
	s_trap 2
.LBB4_361:                              ;   in Loop: Header=BB4_231 Depth=1
	s_or_b64 exec, exec, s[18:19]
.LBB4_362:                              ;   in Loop: Header=BB4_231 Depth=1
	s_or_b64 exec, exec, s[56:57]
	v_and_b32_e32 v0, 0x100, v53
	v_cmp_ne_u32_e32 vcc, 0, v0
	v_and_b32_e32 v2, 7, v8
	s_mov_b64 s[18:19], -1
	;;#ASMSTART
	s_wakeup
	;;#ASMEND
                                        ; implicit-def: $vgpr8_vgpr9
	s_and_saveexec_b64 s[56:57], vcc
	s_cbranch_execz .LBB4_366
; %bb.363:                              ;   in Loop: Header=BB4_231 Depth=1
	v_mad_u64_u32 v[32:33], s[18:19], v2, 24, v[6:7]
                                        ; implicit-def: $vgpr8_vgpr9
	flat_load_dword v0, v[32:33]
	s_waitcnt vmcnt(0) lgkmcnt(0)
	v_cmp_ne_u32_e32 vcc, 1, v0
	v_cmp_eq_u32_e64 s[18:19], 1, v0
	s_and_saveexec_b64 s[58:59], s[18:19]
	s_cbranch_execz .LBB4_365
; %bb.364:                              ;   in Loop: Header=BB4_231 Depth=1
	flat_load_dword v0, v[32:33] offset:4 glc
	s_waitcnt vmcnt(0) lgkmcnt(0)
	v_ashrrev_i32_e32 v1, 31, v0
	v_lshrrev_b64 v[8:9], 1, v[0:1]
.LBB4_365:                              ;   in Loop: Header=BB4_231 Depth=1
	s_or_b64 exec, exec, s[58:59]
	s_orn2_b64 s[18:19], vcc, exec
.LBB4_366:                              ;   in Loop: Header=BB4_231 Depth=1
	s_or_b64 exec, exec, s[56:57]
	s_and_saveexec_b64 s[56:57], s[18:19]
	s_cbranch_execz .LBB4_368
; %bb.367:                              ;   in Loop: Header=BB4_231 Depth=1
	buffer_load_dword v0, off, s[0:3], s33 offset:68 ; 4-byte Folded Reload
	s_waitcnt vmcnt(0)
	v_mad_i64_i32 v[8:9], s[18:19], v2, v0, 0
.LBB4_368:                              ;   in Loop: Header=BB4_231 Depth=1
	s_or_b64 exec, exec, s[56:57]
	v_lshlrev_b64 v[0:1], 1, v[8:9]
	s_waitcnt vmcnt(0)
	v_add_co_u32_e32 v0, vcc, v14, v0
	v_addc_co_u32_e32 v1, vcc, v15, v1, vcc
	ds_write_b64 v0, v[0:1] offset:728
	v_and_b32_e32 v0, 0x2000, v53
	v_cmp_ne_u32_e32 vcc, 0, v0
	s_and_saveexec_b64 s[18:19], vcc
	s_cbranch_execz .LBB4_370
; %bb.369:                              ;   in Loop: Header=BB4_231 Depth=1
	ds_read_b64 v[0:1], v0 offset:872
	s_waitcnt lgkmcnt(0)
	v_add_co_u32_e32 v0, vcc, 1, v0
	v_addc_co_u32_e32 v1, vcc, 0, v1, vcc
	ds_write_b64 v0, v[0:1] offset:872
.LBB4_370:                              ;   in Loop: Header=BB4_231 Depth=1
	s_or_b64 exec, exec, s[18:19]
	v_mov_b32_e32 v8, v29
	v_mov_b32_e32 v9, v30
.LBB4_371:                              ;   in Loop: Header=BB4_231 Depth=1
	s_or_b64 exec, exec, s[44:45]
	s_and_saveexec_b64 s[18:19], s[10:11]
	s_cbranch_execz .LBB4_390
; %bb.372:                              ;   in Loop: Header=BB4_231 Depth=1
	s_and_saveexec_b64 s[44:45], s[28:29]
	s_xor_b64 s[44:45], exec, s[44:45]
	s_cbranch_execz .LBB4_387
; %bb.373:                              ;   in Loop: Header=BB4_231 Depth=1
	s_and_saveexec_b64 s[56:57], s[12:13]
	s_cbranch_execz .LBB4_386
; %bb.374:                              ;   in Loop: Header=BB4_231 Depth=1
	s_mov_b64 s[60:61], exec
	v_mbcnt_lo_u32_b32 v0, s60, 0
	v_mbcnt_hi_u32_b32 v0, s61, v0
	v_cmp_eq_u32_e32 vcc, 0, v0
	s_waitcnt vmcnt(0) lgkmcnt(0)
	buffer_wbinvl1_vol
	s_and_saveexec_b64 s[58:59], vcc
	s_cbranch_execz .LBB4_376
; %bb.375:                              ;   in Loop: Header=BB4_231 Depth=1
	s_bcnt1_i32_b64 s60, s[60:61]
	v_mov_b32_e32 v10, s60
	ds_add_u64 v0, v[10:11]
	s_trap 2
.LBB4_376:                              ;   in Loop: Header=BB4_231 Depth=1
	s_or_b64 exec, exec, s[58:59]
	s_trap 2
	ds_read_b64 v[0:1], v0
	s_waitcnt lgkmcnt(0)
	v_add_co_u32_e32 v20, vcc, v20, v48
	v_addc_co_u32_e32 v21, vcc, 0, v21, vcc
	v_cmp_lt_u64_e32 vcc, v[0:1], v[20:21]
	s_and_saveexec_b64 s[58:59], vcc
	s_cbranch_execz .LBB4_385
; %bb.377:                              ;   in Loop: Header=BB4_231 Depth=1
	s_mov_b32 s88, 0
	s_mov_b64 s[60:61], 0
                                        ; implicit-def: $sgpr62_sgpr63
                                        ; implicit-def: $sgpr72_sgpr73
	s_branch .LBB4_379
.LBB4_378:                              ;   in Loop: Header=BB4_379 Depth=2
	s_or_b64 exec, exec, s[76:77]
	s_and_b64 s[74:75], exec, s[78:79]
	s_or_b64 s[60:61], s[74:75], s[60:61]
	s_andn2_b64 s[62:63], s[62:63], exec
	s_and_b64 s[74:75], s[72:73], exec
	s_or_b64 s[62:63], s[62:63], s[74:75]
	s_andn2_b64 exec, exec, s[60:61]
	s_cbranch_execz .LBB4_383
.LBB4_379:                              ;   Parent Loop BB4_231 Depth=1
                                        ; =>  This Inner Loop Header: Depth=2
	s_add_i32 s88, s88, 1
	s_cmpk_lg_i32 s88, 0x2710
	s_cselect_b64 s[74:75], -1, 0
	s_and_b64 vcc, exec, s[74:75]
	s_cbranch_vccz .LBB4_381
; %bb.380:                              ;   in Loop: Header=BB4_379 Depth=2
	s_mov_b64 s[78:79], -1
	s_or_b64 s[72:73], s[72:73], exec
	s_and_saveexec_b64 s[76:77], s[74:75]
	s_cbranch_execz .LBB4_378
	s_branch .LBB4_382
.LBB4_381:                              ;   in Loop: Header=BB4_379 Depth=2
	s_trap 2
	ds_read_b64 v[0:1], v0
	s_andn2_b64 s[74:75], s[74:75], exec
	s_mov_b32 s88, 0
	s_waitcnt lgkmcnt(0)
	flat_load_dword v0, v[0:1] glc
	s_waitcnt vmcnt(0) lgkmcnt(0)
	buffer_wbinvl1_vol
	v_cmp_eq_u32_e32 vcc, 0, v0
	s_and_b64 s[76:77], vcc, exec
	s_or_b64 s[74:75], s[74:75], s[76:77]
	s_mov_b64 s[78:79], -1
	s_or_b64 s[72:73], s[72:73], exec
	s_and_saveexec_b64 s[76:77], s[74:75]
	s_cbranch_execz .LBB4_378
.LBB4_382:                              ;   in Loop: Header=BB4_379 Depth=2
	s_sleep 1
	s_trap 2
	ds_read_b64 v[0:1], v0
	s_waitcnt lgkmcnt(0)
	s_andn2_b64 s[72:73], s[72:73], exec
	v_cmp_ge_u64_e32 vcc, v[0:1], v[20:21]
	s_orn2_b64 s[78:79], vcc, exec
	s_branch .LBB4_378
.LBB4_383:                              ;   in Loop: Header=BB4_231 Depth=1
	s_or_b64 exec, exec, s[60:61]
	s_and_saveexec_b64 s[60:61], s[62:63]
	s_xor_b64 s[60:61], exec, s[60:61]
	s_cbranch_execz .LBB4_385
; %bb.384:                              ;   in Loop: Header=BB4_231 Depth=1
	ds_write_b32 v0, v61
	s_trap 2
.LBB4_385:                              ;   in Loop: Header=BB4_231 Depth=1
	s_or_b64 exec, exec, s[58:59]
	;;#ASMSTART
	s_wakeup
	;;#ASMEND
.LBB4_386:                              ;   in Loop: Header=BB4_231 Depth=1
	s_or_b64 exec, exec, s[56:57]
.LBB4_387:                              ;   in Loop: Header=BB4_231 Depth=1
	s_andn2_saveexec_b64 s[44:45], s[44:45]
	s_cbranch_execz .LBB4_389
; %bb.388:                              ;   in Loop: Header=BB4_231 Depth=1
	s_waitcnt vmcnt(0) lgkmcnt(0)
	buffer_wbinvl1_vol
	s_barrier
.LBB4_389:                              ;   in Loop: Header=BB4_231 Depth=1
	s_or_b64 exec, exec, s[44:45]
.LBB4_390:                              ;   in Loop: Header=BB4_231 Depth=1
	s_or_b64 exec, exec, s[18:19]
	s_trap 2
	ds_read_b32 v0, v0
	v_sub_u32_e32 v1, v28, v34
	v_min_i32_e32 v1, v44, v1
	v_cmp_lt_i32_e32 vcc, 0, v1
	s_waitcnt lgkmcnt(0)
	v_readfirstlane_b32 s18, v0
	s_cmp_eq_u32 s18, 0
	s_cselect_b64 s[18:19], -1, 0
	v_and_b32_e32 v0, 16, v53
	s_and_b64 s[18:19], vcc, s[18:19]
	v_cmp_ne_u32_e32 vcc, 0, v0
	s_and_b64 s[44:45], vcc, s[18:19]
	s_and_saveexec_b64 s[18:19], s[44:45]
	s_cbranch_execz .LBB4_392
; %bb.391:                              ;   in Loop: Header=BB4_231 Depth=1
	s_waitcnt vmcnt(0)
	buffer_wbinvl1_vol
.LBB4_392:                              ;   in Loop: Header=BB4_231 Depth=1
	s_or_b64 exec, exec, s[18:19]
	v_and_b32_e32 v0, 32, v53
	v_cmp_ne_u32_e32 vcc, 0, v0
	s_and_saveexec_b64 s[18:19], vcc
	s_cbranch_execz .LBB4_229
; %bb.393:                              ;   in Loop: Header=BB4_231 Depth=1
	v_add_co_u32_e32 v8, vcc, 1, v8
	v_addc_co_u32_e32 v9, vcc, 0, v9, vcc
	flat_store_dwordx2 v[18:19], v[8:9]
	s_branch .LBB4_229
.LBB4_394:
	s_or_b64 exec, exec, s[40:41]
	buffer_load_dword v31, off, s[0:3], s33 offset:80 ; 4-byte Folded Reload
	buffer_load_dword v14, off, s[0:3], s33 offset:96 ; 4-byte Folded Reload
	;; [unrolled: 1-line block ×5, first 2 shown]
.LBB4_395:
	s_or_b64 exec, exec, s[26:27]
.LBB4_396:
	s_or_b64 exec, exec, s[20:21]
                                        ; implicit-def: $vgpr0_vgpr1
                                        ; kill: killed $vgpr0_vgpr1
                                        ; implicit-def: $vgpr40_vgpr41
                                        ; implicit-def: $vgpr4_vgpr5
                                        ; implicit-def: $vgpr22_vgpr23
                                        ; implicit-def: $vgpr18_vgpr19
                                        ; implicit-def: $vgpr54
                                        ; implicit-def: $vgpr36
                                        ; implicit-def: $vgpr24
                                        ; implicit-def: $vgpr0
                                        ; kill: killed $vgpr0
                                        ; implicit-def: $vgpr0_vgpr1
                                        ; kill: killed $vgpr0_vgpr1
.LBB4_397:
	s_andn2_saveexec_b64 s[24:25], s[24:25]
	s_cbranch_execz .LBB4_571
; %bb.398:
	v_mov_b32_e32 v20, 0
	v_cmp_ne_u64_e32 vcc, 0, v[4:5]
	v_mov_b32_e32 v21, 0
	s_and_saveexec_b64 s[26:27], vcc
	s_cbranch_execz .LBB4_570
; %bb.399:
	s_waitcnt vmcnt(0)
	v_and_b32_e32 v0, 63, v31
	v_cmp_eq_u32_e64 s[12:13], 0, v0
	v_ashrrev_i32_e32 v0, 31, v54
	v_lshrrev_b32_e32 v0, 26, v0
	v_add_u32_e32 v0, v54, v0
	buffer_store_dword v16, off, s[0:3], s33 offset:88 ; 4-byte Folded Spill
	s_nop 0
	buffer_store_dword v17, off, s[0:3], s33 offset:92 ; 4-byte Folded Spill
	s_trap 2
	buffer_store_dword v15, off, s[0:3], s33 offset:84 ; 4-byte Folded Spill
	buffer_store_dword v31, off, s[0:3], s33 offset:80 ; 4-byte Folded Spill
	v_and_b32_e32 v1, 0xffffffc0, v0
	v_ashrrev_i32_e32 v50, 6, v0
	s_lshr_b32 s6, s30, 27
	v_sub_u32_e32 v60, v54, v1
	v_lshlrev_b32_e32 v0, 12, v50
	buffer_load_dword v16, off, s[0:3], s33 offset:72 ; 4-byte Folded Reload
	buffer_load_dword v17, off, s[0:3], s33 offset:76 ; 4-byte Folded Reload
	s_add_i32 s30, s30, s6
	v_cmp_ge_i32_e64 s[6:7], v54, v14
	v_cmp_eq_u32_e32 vcc, 64, v14
	v_cmp_ne_u32_e64 s[10:11], 64, v14
	v_cmp_ne_u32_sdwa s[28:29], v14, v15 src0_sel:DWORD src1_sel:WORD_0
	v_lshrrev_b32_e32 v30, 6, v14
	v_lshl_add_u32 v51, v60, 4, v0
	v_mov_b32_e32 v52, v14
	v_lshlrev_b32_e32 v0, 1, v14
	buffer_load_dword v31, off, s[0:3], s33 offset:68 ; 4-byte Folded Reload
	buffer_load_dword v14, off, s[0:3], s33 offset:60 ; 4-byte Folded Reload
	;; [unrolled: 1-line block ×3, first 2 shown]
	v_mov_b32_e32 v28, 0
	v_mov_b32_e32 v20, 0
	s_ashr_i32 s94, s30, 5
	v_mov_b32_e32 v27, 0
	v_cmp_gt_i32_e64 s[14:15], 1, v60
	v_cmp_lt_i32_e64 s[16:17], v60, v36
	v_ashrrev_i32_e32 v55, 31, v51
	v_lshlrev_b32_e32 v61, 12, v30
	v_lshlrev_b32_e32 v62, 10, v30
	v_and_b32_e32 v43, 0x7f80, v0
	s_mov_b64 s[40:41], 0
	v_mov_b32_e32 v29, 0
	v_mov_b32_e32 v21, 0
	;; [unrolled: 1-line block ×3, first 2 shown]
	s_xor_b64 s[42:43], vcc, -1
	s_waitcnt vmcnt(0)
	v_cmp_ne_u64_e64 s[18:19], 0, v[16:17]
	s_branch .LBB4_403
.LBB4_400:                              ;   in Loop: Header=BB4_403 Depth=1
	s_or_b64 exec, exec, s[44:45]
	v_add_co_u32_e32 v8, vcc, 1, v8
	v_addc_co_u32_e32 v9, vcc, 0, v9, vcc
	flat_store_dwordx2 v[18:19], v[8:9]
.LBB4_401:                              ;   in Loop: Header=BB4_403 Depth=1
	s_or_b64 exec, exec, s[20:21]
.LBB4_402:                              ;   in Loop: Header=BB4_403 Depth=1
	s_or_b64 exec, exec, s[46:47]
	v_add_co_u32_e32 v28, vcc, v28, v24
	v_addc_co_u32_e32 v29, vcc, 0, v29, vcc
	v_cmp_ge_u64_e32 vcc, v[28:29], v[4:5]
	s_or_b64 s[40:41], vcc, s[40:41]
	s_andn2_b64 exec, exec, s[40:41]
	s_cbranch_execz .LBB4_569
.LBB4_403:                              ; =>This Loop Header: Depth=1
                                        ;     Child Loop BB4_412 Depth 2
                                        ;     Child Loop BB4_436 Depth 2
	;; [unrolled: 1-line block ×10, first 2 shown]
	v_sub_co_u32_e32 v0, vcc, v4, v28
	v_subb_co_u32_e32 v1, vcc, v5, v29, vcc
	v_cmp_lt_u64_e32 vcc, v[24:25], v[0:1]
	v_mov_b32_e32 v2, 0
	v_cndmask_b32_e64 v33, v1, 0, vcc
	v_cndmask_b32_e32 v32, v0, v24, vcc
	v_cmp_eq_u64_e32 vcc, 0, v[32:33]
	v_add_u32_e32 v0, 15, v32
	v_and_b32_e32 v0, 0x3ffffff0, v0
	s_or_b64 s[44:45], s[6:7], vcc
	v_max_i32_e32 v44, s94, v0
	s_xor_b64 s[20:21], s[44:45], -1
	s_and_saveexec_b64 s[46:47], s[20:21]
	s_cbranch_execz .LBB4_522
; %bb.404:                              ;   in Loop: Header=BB4_403 Depth=1
	s_and_saveexec_b64 s[20:21], s[4:5]
	s_cbranch_execz .LBB4_406
; %bb.405:                              ;   in Loop: Header=BB4_403 Depth=1
	s_trap 2
	ds_read_b64 v[0:1], v0
	v_lshlrev_b64 v[2:3], 1, v[40:41]
	v_mov_b32_e32 v26, v27
	s_waitcnt lgkmcnt(0)
	v_add_co_u32_e32 v2, vcc, v0, v2
	v_addc_co_u32_e32 v3, vcc, v1, v3, vcc
	v_lshlrev_b64 v[0:1], 1, v[28:29]
	v_add_co_u32_e32 v0, vcc, v2, v0
	v_addc_co_u32_e32 v1, vcc, v3, v1, vcc
	ds_write_b64 v0, v[0:1]
	ds_write_b64 v0, v[26:27]
.LBB4_406:                              ;   in Loop: Header=BB4_403 Depth=1
	s_or_b64 exec, exec, s[20:21]
	v_and_b32_e32 v0, 8, v53
	v_min_u32_e32 v44, v44, v32
	v_cmp_ne_u32_e32 vcc, 0, v0
	s_and_saveexec_b64 s[56:57], vcc
	s_cbranch_execz .LBB4_428
; %bb.407:                              ;   in Loop: Header=BB4_403 Depth=1
	s_waitcnt vmcnt(0)
	v_add_co_u32_e32 v0, vcc, 8, v22
	v_addc_co_u32_e32 v1, vcc, 0, v23, vcc
	s_waitcnt lgkmcnt(0)
	v_add_co_u32_e32 v33, vcc, 1, v8
	v_addc_co_u32_e32 v34, vcc, 0, v9, vcc
	v_cmp_lt_u64_e32 vcc, v[0:1], v[33:34]
	s_and_saveexec_b64 s[58:59], vcc
	s_cbranch_execz .LBB4_419
; %bb.408:                              ;   in Loop: Header=BB4_403 Depth=1
	v_and_b32_e32 v0, 64, v53
	s_mov_b32 s95, 0
	v_cmp_eq_u32_e32 vcc, 0, v0
	s_mov_b64 s[60:61], 0
                                        ; implicit-def: $sgpr62_sgpr63
                                        ; implicit-def: $sgpr72_sgpr73
                                        ; implicit-def: $sgpr74_sgpr75
	s_branch .LBB4_412
.LBB4_409:                              ;   in Loop: Header=BB4_412 Depth=2
	s_waitcnt vmcnt(0) lgkmcnt(0)
	v_add_co_u32_e64 v0, s[20:21], 8, v22
	v_addc_co_u32_e64 v1, s[20:21], 0, v23, s[20:21]
	v_cmp_ge_u64_e64 s[20:21], v[0:1], v[33:34]
	s_or_b64 s[88:89], s[88:89], exec
	s_orn2_b64 s[78:79], s[20:21], exec
.LBB4_410:                              ;   in Loop: Header=BB4_412 Depth=2
	s_or_b64 exec, exec, s[92:93]
	s_andn2_b64 s[20:21], s[74:75], exec
	s_and_b64 s[74:75], s[88:89], exec
	s_or_b64 s[74:75], s[20:21], s[74:75]
	s_andn2_b64 s[20:21], s[72:73], exec
	s_and_b64 s[72:73], s[78:79], exec
	s_or_b64 s[72:73], s[20:21], s[72:73]
.LBB4_411:                              ;   in Loop: Header=BB4_412 Depth=2
	s_or_b64 exec, exec, s[76:77]
	s_and_b64 s[20:21], exec, s[72:73]
	s_or_b64 s[60:61], s[20:21], s[60:61]
	s_andn2_b64 s[20:21], s[62:63], exec
	s_and_b64 s[62:63], s[74:75], exec
	s_or_b64 s[62:63], s[20:21], s[62:63]
	s_andn2_b64 exec, exec, s[60:61]
	s_cbranch_execz .LBB4_416
.LBB4_412:                              ;   Parent Loop BB4_403 Depth=1
                                        ; =>  This Inner Loop Header: Depth=2
	s_sleep 1
	s_waitcnt vmcnt(0) lgkmcnt(0)
	flat_load_dwordx2 v[22:23], v[18:19] glc
	s_or_b64 s[74:75], s[74:75], exec
	s_or_b64 s[72:73], s[72:73], exec
                                        ; implicit-def: $vgpr2
	s_and_saveexec_b64 s[76:77], vcc
	s_cbranch_execz .LBB4_411
; %bb.413:                              ;   in Loop: Header=BB4_412 Depth=2
	s_cmpk_lt_i32 s95, 0x270f
	s_cselect_b64 s[90:91], -1, 0
	s_cmpk_gt_i32 s95, 0x270e
	s_mov_b64 s[78:79], -1
	s_cbranch_scc0 .LBB4_415
; %bb.414:                              ;   in Loop: Header=BB4_412 Depth=2
	s_trap 2
	ds_read_b64 v[0:1], v0
	s_andn2_b64 s[90:91], s[90:91], exec
	s_mov_b32 s95, 0
	s_mov_b64 s[88:89], 0
	s_waitcnt vmcnt(0) lgkmcnt(0)
	flat_load_dword v2, v[0:1] glc
	s_waitcnt vmcnt(0) lgkmcnt(0)
	buffer_wbinvl1_vol
	v_cmp_eq_u32_e64 s[20:21], 0, v2
	s_and_b64 s[20:21], s[20:21], exec
	s_or_b64 s[90:91], s[90:91], s[20:21]
	s_and_saveexec_b64 s[92:93], s[90:91]
	s_cbranch_execz .LBB4_410
	s_branch .LBB4_409
.LBB4_415:                              ;   in Loop: Header=BB4_412 Depth=2
	s_add_i32 s95, s95, 1
	s_mov_b64 s[88:89], -1
                                        ; implicit-def: $vgpr2
	s_and_saveexec_b64 s[92:93], s[90:91]
	s_cbranch_execz .LBB4_410
	s_branch .LBB4_409
.LBB4_416:                              ;   in Loop: Header=BB4_403 Depth=1
	s_or_b64 exec, exec, s[60:61]
	s_xor_b64 s[20:21], s[62:63], -1
	s_and_saveexec_b64 s[60:61], s[20:21]
	s_xor_b64 s[20:21], exec, s[60:61]
	s_cbranch_execz .LBB4_418
; %bb.417:                              ;   in Loop: Header=BB4_403 Depth=1
	v_or_b32_e32 v53, 64, v53
	s_waitcnt lgkmcnt(0)
	ds_write_b32 v0, v2
	s_trap 2
.LBB4_418:                              ;   in Loop: Header=BB4_403 Depth=1
	s_or_b64 exec, exec, s[20:21]
.LBB4_419:                              ;   in Loop: Header=BB4_403 Depth=1
	s_or_b64 exec, exec, s[58:59]
	v_and_b32_e32 v0, 0x100, v53
	v_cmp_ne_u32_e32 vcc, 0, v0
	v_and_b32_e32 v2, 7, v8
	s_mov_b64 s[20:21], -1
	;;#ASMSTART
	s_wakeup
	;;#ASMEND
                                        ; implicit-def: $vgpr8_vgpr9
	s_and_saveexec_b64 s[58:59], vcc
	s_cbranch_execz .LBB4_423
; %bb.420:                              ;   in Loop: Header=BB4_403 Depth=1
	v_mad_u64_u32 v[35:36], s[20:21], v2, 24, v[6:7]
	v_lshlrev_b32_e32 v26, 1, v44
                                        ; implicit-def: $vgpr8_vgpr9
	flat_load_dword v0, v[35:36]
	s_nop 0
	flat_store_dwordx2 v[35:36], v[26:27] offset:8
	s_waitcnt vmcnt(0) lgkmcnt(0)
	v_cmp_ne_u32_e32 vcc, 1, v0
	v_cmp_eq_u32_e64 s[20:21], 1, v0
	s_and_saveexec_b64 s[60:61], s[20:21]
	s_cbranch_execz .LBB4_422
; %bb.421:                              ;   in Loop: Header=BB4_403 Depth=1
	flat_load_dword v0, v[35:36] offset:4 glc
	s_waitcnt vmcnt(0) lgkmcnt(0)
	v_ashrrev_i32_e32 v1, 31, v0
	v_lshrrev_b64 v[8:9], 1, v[0:1]
.LBB4_422:                              ;   in Loop: Header=BB4_403 Depth=1
	s_or_b64 exec, exec, s[60:61]
	s_orn2_b64 s[20:21], vcc, exec
.LBB4_423:                              ;   in Loop: Header=BB4_403 Depth=1
	s_or_b64 exec, exec, s[58:59]
	s_and_saveexec_b64 s[58:59], s[20:21]
; %bb.424:                              ;   in Loop: Header=BB4_403 Depth=1
	v_mad_i64_i32 v[8:9], s[20:21], v2, v31, 0
; %bb.425:                              ;   in Loop: Header=BB4_403 Depth=1
	s_or_b64 exec, exec, s[58:59]
	v_lshlrev_b64 v[0:1], 1, v[8:9]
	v_add_co_u32_e32 v0, vcc, v14, v0
	v_addc_co_u32_e32 v1, vcc, v15, v1, vcc
	ds_write_b64 v0, v[0:1] offset:784
	v_and_b32_e32 v0, 0x2000, v53
	v_cmp_ne_u32_e32 vcc, 0, v0
	s_and_saveexec_b64 s[20:21], vcc
	s_cbranch_execz .LBB4_427
; %bb.426:                              ;   in Loop: Header=BB4_403 Depth=1
	ds_read_b64 v[0:1], v0 offset:872
	s_waitcnt lgkmcnt(0)
	v_add_co_u32_e32 v0, vcc, 1, v0
	v_addc_co_u32_e32 v1, vcc, 0, v1, vcc
	ds_write_b64 v0, v[0:1] offset:872
.LBB4_427:                              ;   in Loop: Header=BB4_403 Depth=1
	s_or_b64 exec, exec, s[20:21]
	v_mov_b32_e32 v8, v33
	v_mov_b32_e32 v9, v34
.LBB4_428:                              ;   in Loop: Header=BB4_403 Depth=1
	s_or_b64 exec, exec, s[56:57]
	s_and_saveexec_b64 s[20:21], s[10:11]
	s_cbranch_execz .LBB4_447
; %bb.429:                              ;   in Loop: Header=BB4_403 Depth=1
	s_and_saveexec_b64 s[56:57], s[28:29]
	s_xor_b64 s[56:57], exec, s[56:57]
	s_cbranch_execz .LBB4_444
; %bb.430:                              ;   in Loop: Header=BB4_403 Depth=1
	s_and_saveexec_b64 s[58:59], s[12:13]
	s_cbranch_execz .LBB4_443
; %bb.431:                              ;   in Loop: Header=BB4_403 Depth=1
	s_mov_b64 s[62:63], exec
	v_mbcnt_lo_u32_b32 v0, s62, 0
	v_mbcnt_hi_u32_b32 v0, s63, v0
	v_cmp_eq_u32_e32 vcc, 0, v0
	s_waitcnt vmcnt(0) lgkmcnt(0)
	buffer_wbinvl1_vol
	s_and_saveexec_b64 s[60:61], vcc
	s_cbranch_execz .LBB4_433
; %bb.432:                              ;   in Loop: Header=BB4_403 Depth=1
	s_bcnt1_i32_b64 s62, s[62:63]
	v_mov_b32_e32 v26, s62
	ds_add_u64 v0, v[26:27]
	s_trap 2
.LBB4_433:                              ;   in Loop: Header=BB4_403 Depth=1
	s_or_b64 exec, exec, s[60:61]
	s_trap 2
	ds_read_b64 v[0:1], v0
	s_waitcnt lgkmcnt(0)
	v_add_co_u32_e32 v20, vcc, v20, v30
	v_addc_co_u32_e32 v21, vcc, 0, v21, vcc
	v_cmp_lt_u64_e32 vcc, v[0:1], v[20:21]
	s_and_saveexec_b64 s[60:61], vcc
	s_cbranch_execz .LBB4_442
; %bb.434:                              ;   in Loop: Header=BB4_403 Depth=1
	s_mov_b32 s90, 0
	s_mov_b64 s[62:63], 0
                                        ; implicit-def: $sgpr72_sgpr73
                                        ; implicit-def: $sgpr74_sgpr75
	s_branch .LBB4_436
.LBB4_435:                              ;   in Loop: Header=BB4_436 Depth=2
	s_or_b64 exec, exec, s[78:79]
	s_and_b64 s[76:77], exec, s[88:89]
	s_or_b64 s[62:63], s[76:77], s[62:63]
	s_andn2_b64 s[72:73], s[72:73], exec
	s_and_b64 s[76:77], s[74:75], exec
	s_or_b64 s[72:73], s[72:73], s[76:77]
	s_andn2_b64 exec, exec, s[62:63]
	s_cbranch_execz .LBB4_440
.LBB4_436:                              ;   Parent Loop BB4_403 Depth=1
                                        ; =>  This Inner Loop Header: Depth=2
	s_add_i32 s90, s90, 1
	s_cmpk_lg_i32 s90, 0x2710
	s_cselect_b64 s[76:77], -1, 0
	s_and_b64 vcc, exec, s[76:77]
	s_cbranch_vccz .LBB4_438
; %bb.437:                              ;   in Loop: Header=BB4_436 Depth=2
	s_mov_b64 s[88:89], -1
	s_or_b64 s[74:75], s[74:75], exec
	s_and_saveexec_b64 s[78:79], s[76:77]
	s_cbranch_execz .LBB4_435
	s_branch .LBB4_439
.LBB4_438:                              ;   in Loop: Header=BB4_436 Depth=2
	s_trap 2
	ds_read_b64 v[0:1], v0
	s_andn2_b64 s[76:77], s[76:77], exec
	s_mov_b32 s90, 0
	s_waitcnt lgkmcnt(0)
	flat_load_dword v0, v[0:1] glc
	s_waitcnt vmcnt(0) lgkmcnt(0)
	buffer_wbinvl1_vol
	v_cmp_eq_u32_e32 vcc, 0, v0
	s_and_b64 s[78:79], vcc, exec
	s_or_b64 s[76:77], s[76:77], s[78:79]
	s_mov_b64 s[88:89], -1
	s_or_b64 s[74:75], s[74:75], exec
	s_and_saveexec_b64 s[78:79], s[76:77]
	s_cbranch_execz .LBB4_435
.LBB4_439:                              ;   in Loop: Header=BB4_436 Depth=2
	s_sleep 1
	s_trap 2
	ds_read_b64 v[0:1], v0
	s_waitcnt lgkmcnt(0)
	s_andn2_b64 s[74:75], s[74:75], exec
	v_cmp_ge_u64_e32 vcc, v[0:1], v[20:21]
	s_orn2_b64 s[88:89], vcc, exec
	s_branch .LBB4_435
.LBB4_440:                              ;   in Loop: Header=BB4_403 Depth=1
	s_or_b64 exec, exec, s[62:63]
	s_and_saveexec_b64 s[62:63], s[72:73]
	s_xor_b64 s[62:63], exec, s[62:63]
	s_cbranch_execz .LBB4_442
; %bb.441:                              ;   in Loop: Header=BB4_403 Depth=1
	ds_write_b32 v0, v39
	s_trap 2
.LBB4_442:                              ;   in Loop: Header=BB4_403 Depth=1
	s_or_b64 exec, exec, s[60:61]
	;;#ASMSTART
	s_wakeup
	;;#ASMEND
.LBB4_443:                              ;   in Loop: Header=BB4_403 Depth=1
	s_or_b64 exec, exec, s[58:59]
.LBB4_444:                              ;   in Loop: Header=BB4_403 Depth=1
	s_andn2_saveexec_b64 s[56:57], s[56:57]
	s_cbranch_execz .LBB4_446
; %bb.445:                              ;   in Loop: Header=BB4_403 Depth=1
	s_waitcnt vmcnt(0) lgkmcnt(0)
	buffer_wbinvl1_vol
	s_barrier
.LBB4_446:                              ;   in Loop: Header=BB4_403 Depth=1
	s_or_b64 exec, exec, s[56:57]
.LBB4_447:                              ;   in Loop: Header=BB4_403 Depth=1
	s_or_b64 exec, exec, s[20:21]
	s_trap 2
	ds_read_b32 v37, v0
	v_and_b32_e32 v0, 0x4000, v53
	v_cmp_ne_u32_e32 vcc, 0, v0
	s_and_b64 s[56:57], s[42:43], vcc
	s_and_saveexec_b64 s[20:21], s[56:57]
	s_cbranch_execz .LBB4_466
; %bb.448:                              ;   in Loop: Header=BB4_403 Depth=1
	s_and_saveexec_b64 s[56:57], s[28:29]
	s_xor_b64 s[56:57], exec, s[56:57]
	s_cbranch_execz .LBB4_463
; %bb.449:                              ;   in Loop: Header=BB4_403 Depth=1
	s_and_saveexec_b64 s[58:59], s[12:13]
	s_cbranch_execz .LBB4_462
; %bb.450:                              ;   in Loop: Header=BB4_403 Depth=1
	s_mov_b64 s[62:63], exec
	v_mbcnt_lo_u32_b32 v0, s62, 0
	v_mbcnt_hi_u32_b32 v0, s63, v0
	v_cmp_eq_u32_e32 vcc, 0, v0
	s_waitcnt vmcnt(0) lgkmcnt(0)
	buffer_wbinvl1_vol
	s_and_saveexec_b64 s[60:61], vcc
	s_cbranch_execz .LBB4_452
; %bb.451:                              ;   in Loop: Header=BB4_403 Depth=1
	s_bcnt1_i32_b64 s62, s[62:63]
	v_mov_b32_e32 v26, s62
	ds_add_u64 v0, v[26:27]
	s_trap 2
.LBB4_452:                              ;   in Loop: Header=BB4_403 Depth=1
	s_or_b64 exec, exec, s[60:61]
	s_trap 2
	ds_read_b64 v[0:1], v0
	s_waitcnt lgkmcnt(0)
	v_add_co_u32_e32 v20, vcc, v20, v30
	v_addc_co_u32_e32 v21, vcc, 0, v21, vcc
	v_cmp_lt_u64_e32 vcc, v[0:1], v[20:21]
	s_and_saveexec_b64 s[60:61], vcc
	s_cbranch_execz .LBB4_461
; %bb.453:                              ;   in Loop: Header=BB4_403 Depth=1
	s_mov_b32 s90, 0
	s_mov_b64 s[62:63], 0
                                        ; implicit-def: $sgpr72_sgpr73
                                        ; implicit-def: $sgpr74_sgpr75
	s_branch .LBB4_455
.LBB4_454:                              ;   in Loop: Header=BB4_455 Depth=2
	s_or_b64 exec, exec, s[78:79]
	s_and_b64 s[76:77], exec, s[88:89]
	s_or_b64 s[62:63], s[76:77], s[62:63]
	s_andn2_b64 s[72:73], s[72:73], exec
	s_and_b64 s[76:77], s[74:75], exec
	s_or_b64 s[72:73], s[72:73], s[76:77]
	s_andn2_b64 exec, exec, s[62:63]
	s_cbranch_execz .LBB4_459
.LBB4_455:                              ;   Parent Loop BB4_403 Depth=1
                                        ; =>  This Inner Loop Header: Depth=2
	s_add_i32 s90, s90, 1
	s_cmpk_lg_i32 s90, 0x2710
	s_cselect_b64 s[76:77], -1, 0
	s_and_b64 vcc, exec, s[76:77]
	s_cbranch_vccz .LBB4_457
; %bb.456:                              ;   in Loop: Header=BB4_455 Depth=2
	s_mov_b64 s[88:89], -1
	s_or_b64 s[74:75], s[74:75], exec
	s_and_saveexec_b64 s[78:79], s[76:77]
	s_cbranch_execz .LBB4_454
	s_branch .LBB4_458
.LBB4_457:                              ;   in Loop: Header=BB4_455 Depth=2
	s_trap 2
	ds_read_b64 v[0:1], v0
	s_andn2_b64 s[76:77], s[76:77], exec
	s_mov_b32 s90, 0
	s_waitcnt lgkmcnt(0)
	flat_load_dword v0, v[0:1] glc
	s_waitcnt vmcnt(0) lgkmcnt(0)
	buffer_wbinvl1_vol
	v_cmp_eq_u32_e32 vcc, 0, v0
	s_and_b64 s[78:79], vcc, exec
	s_or_b64 s[76:77], s[76:77], s[78:79]
	s_mov_b64 s[88:89], -1
	s_or_b64 s[74:75], s[74:75], exec
	s_and_saveexec_b64 s[78:79], s[76:77]
	s_cbranch_execz .LBB4_454
.LBB4_458:                              ;   in Loop: Header=BB4_455 Depth=2
	s_sleep 1
	s_trap 2
	ds_read_b64 v[0:1], v0
	s_waitcnt lgkmcnt(0)
	s_andn2_b64 s[74:75], s[74:75], exec
	v_cmp_ge_u64_e32 vcc, v[0:1], v[20:21]
	s_orn2_b64 s[88:89], vcc, exec
	s_branch .LBB4_454
.LBB4_459:                              ;   in Loop: Header=BB4_403 Depth=1
	s_or_b64 exec, exec, s[62:63]
	s_and_saveexec_b64 s[62:63], s[72:73]
	s_xor_b64 s[62:63], exec, s[62:63]
	s_cbranch_execz .LBB4_461
; %bb.460:                              ;   in Loop: Header=BB4_403 Depth=1
	ds_write_b32 v0, v39
	s_trap 2
.LBB4_461:                              ;   in Loop: Header=BB4_403 Depth=1
	s_or_b64 exec, exec, s[60:61]
	;;#ASMSTART
	s_wakeup
	;;#ASMEND
.LBB4_462:                              ;   in Loop: Header=BB4_403 Depth=1
	s_or_b64 exec, exec, s[58:59]
.LBB4_463:                              ;   in Loop: Header=BB4_403 Depth=1
	s_andn2_saveexec_b64 s[56:57], s[56:57]
	s_cbranch_execz .LBB4_465
; %bb.464:                              ;   in Loop: Header=BB4_403 Depth=1
	s_waitcnt vmcnt(0) lgkmcnt(0)
	buffer_wbinvl1_vol
	s_barrier
.LBB4_465:                              ;   in Loop: Header=BB4_403 Depth=1
	s_or_b64 exec, exec, s[56:57]
.LBB4_466:                              ;   in Loop: Header=BB4_403 Depth=1
	s_or_b64 exec, exec, s[20:21]
	s_trap 2
	ds_read_b64 v[33:34], v0
	s_waitcnt lgkmcnt(0)
	v_cmp_eq_u64_e32 vcc, 0, v[33:34]
	s_cbranch_vccnz .LBB4_474
; %bb.467:                              ;   in Loop: Header=BB4_403 Depth=1
	s_trap 2
	ds_read_b64 v[35:36], v0
	s_waitcnt lgkmcnt(0)
	v_cmp_eq_u64_e32 vcc, 0, v[35:36]
	s_cbranch_vccnz .LBB4_474
; %bb.468:                              ;   in Loop: Header=BB4_403 Depth=1
	s_mov_b64 s[20:21], -1
	s_and_saveexec_b64 s[56:57], s[14:15]
	s_cbranch_execz .LBB4_470
; %bb.469:                              ;   in Loop: Header=BB4_403 Depth=1
	ds_read_b32 v0, v0 offset:720
	s_waitcnt lgkmcnt(0)
	v_and_b32_e32 v0, 15, v0
	v_cmp_eq_u32_e32 vcc, 0, v0
	s_orn2_b64 s[20:21], vcc, exec
.LBB4_470:                              ;   in Loop: Header=BB4_403 Depth=1
	s_or_b64 exec, exec, s[56:57]
	s_and_saveexec_b64 s[56:57], s[16:17]
	s_cbranch_execz .LBB4_472
; %bb.471:                              ;   in Loop: Header=BB4_403 Depth=1
	ds_read_b32 v0, v0 offset:784
	s_waitcnt lgkmcnt(0)
	v_and_b32_e32 v0, 15, v0
	v_cmp_eq_u32_e32 vcc, 0, v0
	s_and_b64 s[58:59], s[20:21], vcc
	s_andn2_b64 s[20:21], s[20:21], exec
	s_and_b64 s[58:59], s[58:59], exec
	s_or_b64 s[20:21], s[20:21], s[58:59]
.LBB4_472:                              ;   in Loop: Header=BB4_403 Depth=1
	s_or_b64 exec, exec, s[56:57]
	v_cmp_eq_u32_e32 vcc, 0, v37
	s_xor_b64 s[20:21], s[20:21], -1
	v_cndmask_b32_e32 v26, 0, v44, vcc
	v_cndmask_b32_e64 v0, 0, 1, s[20:21]
	v_lshlrev_b32_e32 v45, 1, v26
	s_mov_b64 s[58:59], -1
	v_cmp_ne_u32_e32 vcc, 0, v0
	v_mov_b32_e32 v46, 0
	s_cbranch_vccz .LBB4_475
; %bb.473:                              ;   in Loop: Header=BB4_403 Depth=1
	v_mov_b32_e32 v47, v54
	v_mov_b32_e32 v49, v50
	s_and_saveexec_b64 s[20:21], s[58:59]
	s_cbranch_execnz .LBB4_488
	s_branch .LBB4_496
.LBB4_474:                              ;   in Loop: Header=BB4_403 Depth=1
	s_mov_b64 s[20:21], 0
	s_and_saveexec_b64 s[56:57], s[10:11]
	s_cbranch_execnz .LBB4_497
	s_branch .LBB4_515
.LBB4_475:                              ;   in Loop: Header=BB4_403 Depth=1
	v_lshrrev_b32_e32 v2, 11, v26
	v_sub_u32_e32 v3, v2, v50
	v_cmp_lt_i32_e32 vcc, 0, v3
	s_and_saveexec_b64 s[20:21], vcc
	s_cbranch_execz .LBB4_479
; %bb.476:                              ;   in Loop: Header=BB4_403 Depth=1
	v_mov_b32_e32 v47, v41
	v_mov_b32_e32 v38, v36
	v_mov_b32_e32 v49, v34
	v_mov_b32_e32 v46, v40
	s_mov_b64 s[56:57], 0
	v_mov_b32_e32 v37, v35
	v_mov_b32_e32 v48, v33
.LBB4_477:                              ;   Parent Loop BB4_403 Depth=1
                                        ; =>  This Inner Loop Header: Depth=2
	v_add_co_u32_e32 v0, vcc, v51, v48
	v_addc_co_u32_e32 v1, vcc, v55, v49, vcc
	global_load_dwordx4 v[56:59], v[0:1], off glc slc
	global_load_dwordx4 v[14:17], v[0:1], off offset:1024 glc slc
	global_load_dwordx4 v[10:13], v[0:1], off offset:2048 glc slc
	;; [unrolled: 1-line block ×3, first 2 shown]
	v_add_co_u32_e32 v0, vcc, v51, v37
	v_addc_co_u32_e32 v1, vcc, v55, v38, vcc
	v_add_co_u32_e32 v48, vcc, v48, v61
	v_addc_co_u32_e32 v49, vcc, 0, v49, vcc
	v_add_co_u32_e32 v37, vcc, v37, v61
	v_sub_u32_e32 v3, v3, v30
	v_addc_co_u32_e32 v38, vcc, 0, v38, vcc
	v_cmp_gt_i32_e32 vcc, 1, v3
	s_or_b64 s[56:57], vcc, s[56:57]
	s_waitcnt vmcnt(0)
	global_store_dwordx4 v[0:1], v[56:59], off glc slc
	global_store_dwordx4 v[0:1], v[14:17], off offset:1024 glc slc
	global_store_dwordx4 v[0:1], v[10:13], off offset:2048 glc slc
	;; [unrolled: 1-line block ×3, first 2 shown]
	s_andn2_b64 exec, exec, s[56:57]
	s_cbranch_execnz .LBB4_477
; %bb.478:                              ;   in Loop: Header=BB4_403 Depth=1
	s_or_b64 exec, exec, s[56:57]
	buffer_load_dword v14, off, s[0:3], s33 offset:60 ; 4-byte Folded Reload
	buffer_load_dword v15, off, s[0:3], s33 offset:64 ; 4-byte Folded Reload
	;; [unrolled: 1-line block ×4, first 2 shown]
	v_mov_b32_e32 v40, v46
	v_mov_b32_e32 v41, v47
	;; [unrolled: 1-line block ×3, first 2 shown]
.LBB4_479:                              ;   in Loop: Header=BB4_403 Depth=1
	s_or_b64 exec, exec, s[20:21]
	v_lshlrev_b32_e32 v2, 12, v2
	v_cmp_ne_u32_e32 vcc, v45, v2
	s_mov_b64 s[58:59], 0
	v_mov_b32_e32 v46, 0
                                        ; implicit-def: $vgpr47
                                        ; implicit-def: $vgpr49
	s_and_saveexec_b64 s[56:57], vcc
	s_cbranch_execz .LBB4_487
; %bb.480:                              ;   in Loop: Header=BB4_403 Depth=1
	v_lshlrev_b32_e32 v1, 6, v3
	v_sub_u32_e32 v1, v60, v1
	v_ashrrev_i32_e32 v3, 31, v1
	v_lshrrev_b32_e32 v3, 26, v3
	v_add_u32_e32 v3, v1, v3
	v_ashrrev_i32_e32 v10, 6, v3
	v_and_b32_e32 v3, 0xffffffc0, v3
	v_sub_u32_e32 v3, v1, v3
	v_sub_u32_e32 v0, v45, v2
	v_lshlrev_b32_e32 v1, 4, v3
	v_lshl_add_u32 v46, v10, 10, v1
	v_ashrrev_i32_e32 v1, 31, v0
	v_lshrrev_b32_e32 v1, 22, v1
	v_add_u32_e32 v1, v0, v1
	v_and_b32_e32 v37, 0xfffffc00, v1
	v_sub_u32_e32 v48, v0, v37
	v_ashrrev_i32_e32 v11, 10, v1
	v_cmp_lt_i32_e32 vcc, 15, v48
	v_sub_u32_e32 v49, v0, v46
	v_addc_co_u32_e64 v0, s[20:21], 0, v11, vcc
	v_sub_u32_e32 v38, v0, v10
	v_cmp_lt_i32_e64 s[20:21], 15, v49
	s_and_saveexec_b64 s[58:59], s[20:21]
	s_cbranch_execz .LBB4_484
; %bb.481:                              ;   in Loop: Header=BB4_403 Depth=1
	v_add_u32_e32 v46, v46, v2
	v_ashrrev_i32_e32 v47, 31, v46
	s_mov_b64 s[60:61], 0
.LBB4_482:                              ;   Parent Loop BB4_403 Depth=1
                                        ; =>  This Inner Loop Header: Depth=2
	v_add_co_u32_e64 v0, s[20:21], v33, v46
	v_addc_co_u32_e64 v1, s[20:21], v34, v47, s[20:21]
	global_load_dwordx4 v[10:13], v[0:1], off glc slc
	v_add_co_u32_e64 v0, s[20:21], v35, v46
	v_addc_co_u32_e64 v1, s[20:21], v36, v47, s[20:21]
	v_add_co_u32_e64 v46, s[20:21], v46, v62
	v_sub_u32_e32 v49, v49, v62
	v_addc_co_u32_e64 v47, s[20:21], 0, v47, s[20:21]
	v_cmp_gt_i32_e64 s[20:21], 16, v49
	v_sub_u32_e32 v38, v38, v30
	s_or_b64 s[60:61], s[20:21], s[60:61]
	s_waitcnt vmcnt(0)
	global_store_dwordx4 v[0:1], v[10:13], off glc slc
	s_andn2_b64 exec, exec, s[60:61]
	s_cbranch_execnz .LBB4_482
; %bb.483:                              ;   in Loop: Header=BB4_403 Depth=1
	s_or_b64 exec, exec, s[60:61]
.LBB4_484:                              ;   in Loop: Header=BB4_403 Depth=1
	s_or_b64 exec, exec, s[58:59]
	v_and_b32_e32 v56, 14, v45
	v_cndmask_b32_e32 v45, v48, v56, vcc
	v_mov_b32_e32 v46, 0
	v_cmp_ne_u32_e64 s[20:21], 0, v45
	s_mov_b64 s[58:59], 0
                                        ; implicit-def: $vgpr47
                                        ; implicit-def: $vgpr49
	s_and_saveexec_b64 s[60:61], s[20:21]
	s_cbranch_execz .LBB4_486
; %bb.485:                              ;   in Loop: Header=BB4_403 Depth=1
	v_sub_u32_e32 v0, v48, v56
	v_cndmask_b32_e32 v0, 0, v0, vcc
	v_cmp_lt_i32_e32 vcc, 0, v38
	v_add3_u32 v46, v37, v2, v0
	v_cndmask_b32_e32 v0, 0, v30, vcc
	v_sub_u32_e32 v0, v0, v38
	v_lshl_add_u32 v47, v0, 6, v3
	v_ashrrev_i32_e32 v0, 31, v47
	v_lshrrev_b32_e32 v0, 26, v0
	v_add_u32_e32 v0, v47, v0
	s_mov_b64 s[58:59], exec
	v_ashrrev_i32_e32 v49, 6, v0
.LBB4_486:                              ;   in Loop: Header=BB4_403 Depth=1
	s_or_b64 exec, exec, s[60:61]
	s_and_b64 s[58:59], s[58:59], exec
.LBB4_487:                              ;   in Loop: Header=BB4_403 Depth=1
	s_or_b64 exec, exec, s[56:57]
	s_and_saveexec_b64 s[20:21], s[58:59]
	s_cbranch_execz .LBB4_496
.LBB4_488:                              ;   in Loop: Header=BB4_403 Depth=1
	v_ashrrev_i32_e32 v0, 31, v45
	v_lshrrev_b32_e32 v0, 22, v0
	v_add_u32_e32 v0, v45, v0
	v_ashrrev_i32_e32 v56, 10, v0
	v_sub_u32_e32 v2, v56, v49
	v_ashrrev_i32_e32 v0, 31, v47
	v_cmp_lt_i32_e32 vcc, 0, v2
	v_lshrrev_b32_e32 v3, 26, v0
	s_and_saveexec_b64 s[56:57], vcc
	s_cbranch_execz .LBB4_492
; %bb.489:                              ;   in Loop: Header=BB4_403 Depth=1
	v_add_u32_e32 v0, v47, v3
	v_and_b32_e32 v0, 0x7fffffc0, v0
	v_sub_u32_e32 v0, v47, v0
	v_lshlrev_b32_e32 v0, 1, v0
	v_lshlrev_b32_e32 v1, 10, v49
	v_add3_u32 v57, v0, v46, v1
	v_mov_b32_e32 v38, v36
	v_mov_b32_e32 v49, v34
	v_ashrrev_i32_e32 v58, 31, v57
	s_mov_b64 s[58:59], 0
	v_mov_b32_e32 v37, v35
	v_mov_b32_e32 v48, v33
.LBB4_490:                              ;   Parent Loop BB4_403 Depth=1
                                        ; =>  This Inner Loop Header: Depth=2
	v_add_co_u32_e32 v0, vcc, v57, v48
	v_addc_co_u32_e32 v1, vcc, v58, v49, vcc
	flat_load_ushort v10, v[0:1] glc slc
	flat_load_ushort v11, v[0:1] offset:128 glc slc
	flat_load_ushort v12, v[0:1] offset:256 glc slc
	;; [unrolled: 1-line block ×3, first 2 shown]
	s_waitcnt vmcnt(0)
	flat_load_ushort v14, v[0:1] offset:512 glc slc
	flat_load_ushort v15, v[0:1] offset:640 glc slc
	flat_load_ushort v16, v[0:1] offset:768 glc slc
	flat_load_ushort v17, v[0:1] offset:896 glc slc
	v_add_co_u32_e32 v0, vcc, v57, v37
	v_addc_co_u32_e32 v1, vcc, v58, v38, vcc
	v_add_co_u32_e32 v48, vcc, v48, v62
	v_addc_co_u32_e32 v49, vcc, 0, v49, vcc
	v_add_co_u32_e32 v37, vcc, v37, v62
	v_sub_u32_e32 v2, v2, v30
	v_addc_co_u32_e32 v38, vcc, 0, v38, vcc
	v_cmp_gt_i32_e32 vcc, 1, v2
	s_or_b64 s[58:59], vcc, s[58:59]
	s_waitcnt lgkmcnt(0)
	flat_store_short v[0:1], v10 glc slc
	flat_store_short v[0:1], v11 offset:128 glc slc
	flat_store_short v[0:1], v12 offset:256 glc slc
	;; [unrolled: 1-line block ×3, first 2 shown]
	s_waitcnt vmcnt(0)
	flat_store_short v[0:1], v14 offset:512 glc slc
	flat_store_short v[0:1], v15 offset:640 glc slc
	;; [unrolled: 1-line block ×4, first 2 shown]
	s_andn2_b64 exec, exec, s[58:59]
	s_cbranch_execnz .LBB4_490
; %bb.491:                              ;   in Loop: Header=BB4_403 Depth=1
	s_or_b64 exec, exec, s[58:59]
	buffer_load_dword v14, off, s[0:3], s33 offset:60 ; 4-byte Folded Reload
	buffer_load_dword v15, off, s[0:3], s33 offset:64 ; 4-byte Folded Reload
	;; [unrolled: 1-line block ×4, first 2 shown]
.LBB4_492:                              ;   in Loop: Header=BB4_403 Depth=1
	s_or_b64 exec, exec, s[56:57]
	v_lshlrev_b32_e32 v37, 10, v56
	v_cmp_ne_u32_e32 vcc, v45, v37
	s_and_b64 exec, exec, vcc
	s_cbranch_execz .LBB4_496
; %bb.493:                              ;   in Loop: Header=BB4_403 Depth=1
	v_add_u32_e32 v0, v47, v3
	v_and_b32_e32 v0, 0xffffffc0, v0
	v_sub_u32_e32 v0, v47, v0
	v_lshlrev_b32_e32 v1, 6, v2
	v_sub_u32_e32 v0, v0, v1
	v_ashrrev_i32_e32 v1, 31, v0
	v_lshrrev_b32_e32 v1, 26, v1
	v_add_u32_e32 v1, v0, v1
	v_and_b32_e32 v2, 0x7fffffc0, v1
	v_sub_u32_e32 v0, v0, v2
	v_lshlrev_b32_e32 v1, 1, v1
	v_and_b32_e32 v1, 0xffffff80, v1
	v_lshlrev_b32_e32 v0, 1, v0
	v_add3_u32 v3, v1, v0, v37
	v_sub_u32_e32 v2, v45, v3
	v_cmp_lt_i32_e32 vcc, 1, v2
	s_and_b64 exec, exec, vcc
	s_cbranch_execz .LBB4_496
; %bb.494:                              ;   in Loop: Header=BB4_403 Depth=1
	v_add_u32_e32 v3, v3, v46
	v_ashrrev_i32_e32 v37, 31, v3
	s_mov_b64 s[56:57], 0
.LBB4_495:                              ;   Parent Loop BB4_403 Depth=1
                                        ; =>  This Inner Loop Header: Depth=2
	v_add_co_u32_e32 v0, vcc, v33, v3
	v_addc_co_u32_e32 v1, vcc, v34, v37, vcc
	flat_load_ushort v10, v[0:1] glc slc
	v_add_co_u32_e32 v0, vcc, v35, v3
	v_addc_co_u32_e32 v1, vcc, v36, v37, vcc
	v_add_co_u32_e32 v3, vcc, v3, v43
	v_sub_u32_e32 v2, v2, v43
	v_addc_co_u32_e32 v37, vcc, 0, v37, vcc
	v_cmp_gt_i32_e32 vcc, 2, v2
	s_or_b64 s[56:57], vcc, s[56:57]
	s_waitcnt vmcnt(0) lgkmcnt(0)
	flat_store_short v[0:1], v10 glc slc
	s_andn2_b64 exec, exec, s[56:57]
	s_cbranch_execnz .LBB4_495
.LBB4_496:                              ;   in Loop: Header=BB4_403 Depth=1
	s_or_b64 exec, exec, s[20:21]
	v_cmp_ne_u32_e64 s[20:21], 0, v26
	s_and_saveexec_b64 s[56:57], s[10:11]
	s_cbranch_execz .LBB4_515
.LBB4_497:                              ;   in Loop: Header=BB4_403 Depth=1
	s_and_saveexec_b64 s[58:59], s[28:29]
	s_xor_b64 s[58:59], exec, s[58:59]
	s_cbranch_execz .LBB4_512
; %bb.498:                              ;   in Loop: Header=BB4_403 Depth=1
	s_and_saveexec_b64 s[60:61], s[12:13]
	s_cbranch_execz .LBB4_511
; %bb.499:                              ;   in Loop: Header=BB4_403 Depth=1
	s_mov_b64 s[72:73], exec
	v_mbcnt_lo_u32_b32 v0, s72, 0
	v_mbcnt_hi_u32_b32 v0, s73, v0
	v_cmp_eq_u32_e32 vcc, 0, v0
	s_waitcnt vmcnt(0) lgkmcnt(0)
	buffer_wbinvl1_vol
	s_and_saveexec_b64 s[62:63], vcc
	s_cbranch_execz .LBB4_501
; %bb.500:                              ;   in Loop: Header=BB4_403 Depth=1
	s_bcnt1_i32_b64 s72, s[72:73]
	v_mov_b32_e32 v26, s72
	ds_add_u64 v0, v[26:27]
	s_trap 2
.LBB4_501:                              ;   in Loop: Header=BB4_403 Depth=1
	s_or_b64 exec, exec, s[62:63]
	s_trap 2
	ds_read_b64 v[0:1], v0
	s_waitcnt lgkmcnt(0)
	v_add_co_u32_e32 v20, vcc, v20, v30
	v_addc_co_u32_e32 v21, vcc, 0, v21, vcc
	v_cmp_lt_u64_e32 vcc, v[0:1], v[20:21]
	s_and_saveexec_b64 s[62:63], vcc
	s_cbranch_execz .LBB4_510
; %bb.502:                              ;   in Loop: Header=BB4_403 Depth=1
	s_mov_b32 s92, 0
	s_mov_b64 s[72:73], 0
                                        ; implicit-def: $sgpr74_sgpr75
                                        ; implicit-def: $sgpr76_sgpr77
	s_branch .LBB4_504
.LBB4_503:                              ;   in Loop: Header=BB4_504 Depth=2
	s_or_b64 exec, exec, s[88:89]
	s_and_b64 s[78:79], exec, s[90:91]
	s_or_b64 s[72:73], s[78:79], s[72:73]
	s_andn2_b64 s[74:75], s[74:75], exec
	s_and_b64 s[78:79], s[76:77], exec
	s_or_b64 s[74:75], s[74:75], s[78:79]
	s_andn2_b64 exec, exec, s[72:73]
	s_cbranch_execz .LBB4_508
.LBB4_504:                              ;   Parent Loop BB4_403 Depth=1
                                        ; =>  This Inner Loop Header: Depth=2
	s_add_i32 s92, s92, 1
	s_cmpk_lg_i32 s92, 0x2710
	s_cselect_b64 s[78:79], -1, 0
	s_and_b64 vcc, exec, s[78:79]
	s_cbranch_vccz .LBB4_506
; %bb.505:                              ;   in Loop: Header=BB4_504 Depth=2
	s_mov_b64 s[90:91], -1
	s_or_b64 s[76:77], s[76:77], exec
	s_and_saveexec_b64 s[88:89], s[78:79]
	s_cbranch_execz .LBB4_503
	s_branch .LBB4_507
.LBB4_506:                              ;   in Loop: Header=BB4_504 Depth=2
	s_trap 2
	ds_read_b64 v[0:1], v0
	s_andn2_b64 s[78:79], s[78:79], exec
	s_mov_b32 s92, 0
	s_waitcnt lgkmcnt(0)
	flat_load_dword v0, v[0:1] glc
	s_waitcnt vmcnt(0) lgkmcnt(0)
	buffer_wbinvl1_vol
	v_cmp_eq_u32_e32 vcc, 0, v0
	s_and_b64 s[88:89], vcc, exec
	s_or_b64 s[78:79], s[78:79], s[88:89]
	s_mov_b64 s[90:91], -1
	s_or_b64 s[76:77], s[76:77], exec
	s_and_saveexec_b64 s[88:89], s[78:79]
	s_cbranch_execz .LBB4_503
.LBB4_507:                              ;   in Loop: Header=BB4_504 Depth=2
	s_sleep 1
	s_trap 2
	ds_read_b64 v[0:1], v0
	s_waitcnt lgkmcnt(0)
	s_andn2_b64 s[76:77], s[76:77], exec
	v_cmp_ge_u64_e32 vcc, v[0:1], v[20:21]
	s_orn2_b64 s[90:91], vcc, exec
	s_branch .LBB4_503
.LBB4_508:                              ;   in Loop: Header=BB4_403 Depth=1
	s_or_b64 exec, exec, s[72:73]
	s_and_saveexec_b64 s[72:73], s[74:75]
	s_xor_b64 s[72:73], exec, s[72:73]
	s_cbranch_execz .LBB4_510
; %bb.509:                              ;   in Loop: Header=BB4_403 Depth=1
	ds_write_b32 v0, v39
	s_trap 2
.LBB4_510:                              ;   in Loop: Header=BB4_403 Depth=1
	s_or_b64 exec, exec, s[62:63]
	;;#ASMSTART
	s_wakeup
	;;#ASMEND
.LBB4_511:                              ;   in Loop: Header=BB4_403 Depth=1
	s_or_b64 exec, exec, s[60:61]
.LBB4_512:                              ;   in Loop: Header=BB4_403 Depth=1
	s_andn2_saveexec_b64 s[58:59], s[58:59]
	s_cbranch_execz .LBB4_514
; %bb.513:                              ;   in Loop: Header=BB4_403 Depth=1
	s_waitcnt vmcnt(0) lgkmcnt(0)
	buffer_wbinvl1_vol
	s_barrier
.LBB4_514:                              ;   in Loop: Header=BB4_403 Depth=1
	s_or_b64 exec, exec, s[58:59]
.LBB4_515:                              ;   in Loop: Header=BB4_403 Depth=1
	s_or_b64 exec, exec, s[56:57]
	v_and_b32_e32 v2, 16, v53
	v_cmp_ne_u32_e32 vcc, 0, v2
	s_and_b64 s[56:57], vcc, s[20:21]
	s_and_saveexec_b64 s[20:21], s[56:57]
	s_cbranch_execz .LBB4_517
; %bb.516:                              ;   in Loop: Header=BB4_403 Depth=1
	s_waitcnt vmcnt(0) lgkmcnt(0)
	buffer_wbinvl1_vol
.LBB4_517:                              ;   in Loop: Header=BB4_403 Depth=1
	s_or_b64 exec, exec, s[20:21]
	v_cmp_ne_u32_e32 vcc, 0, v2
	s_and_saveexec_b64 s[20:21], vcc
	s_cbranch_execz .LBB4_521
; %bb.518:                              ;   in Loop: Header=BB4_403 Depth=1
	s_and_saveexec_b64 s[56:57], s[18:19]
	s_cbranch_execz .LBB4_520
; %bb.519:                              ;   in Loop: Header=BB4_403 Depth=1
	s_waitcnt vmcnt(0)
	flat_store_dword v[16:17], v39
.LBB4_520:                              ;   in Loop: Header=BB4_403 Depth=1
	s_or_b64 exec, exec, s[56:57]
	v_add_co_u32_e32 v8, vcc, 1, v8
	v_addc_co_u32_e32 v9, vcc, 0, v9, vcc
	flat_store_dwordx2 v[18:19], v[8:9]
.LBB4_521:                              ;   in Loop: Header=BB4_403 Depth=1
	s_or_b64 exec, exec, s[20:21]
	v_mov_b32_e32 v2, v44
.LBB4_522:                              ;   in Loop: Header=BB4_403 Depth=1
	s_or_b64 exec, exec, s[46:47]
	s_and_saveexec_b64 s[46:47], s[44:45]
	s_cbranch_execz .LBB4_402
; %bb.523:                              ;   in Loop: Header=BB4_403 Depth=1
	v_sub_u32_e32 v0, v32, v2
	v_min_i32_e32 v32, v44, v0
	v_and_b32_e32 v0, 8, v53
	v_cmp_ne_u32_e32 vcc, 0, v0
	s_and_saveexec_b64 s[44:45], vcc
	s_cbranch_execz .LBB4_545
; %bb.524:                              ;   in Loop: Header=BB4_403 Depth=1
	s_waitcnt vmcnt(0)
	v_add_co_u32_e32 v0, vcc, 8, v22
	v_addc_co_u32_e32 v1, vcc, 0, v23, vcc
	s_waitcnt lgkmcnt(0)
	v_add_co_u32_e32 v34, vcc, 1, v8
	v_addc_co_u32_e32 v35, vcc, 0, v9, vcc
	v_cmp_lt_u64_e32 vcc, v[0:1], v[34:35]
	s_and_saveexec_b64 s[56:57], vcc
	s_cbranch_execz .LBB4_536
; %bb.525:                              ;   in Loop: Header=BB4_403 Depth=1
	v_and_b32_e32 v0, 64, v53
	s_mov_b32 s92, 0
	v_cmp_eq_u32_e32 vcc, 0, v0
	s_mov_b64 s[58:59], 0
                                        ; implicit-def: $sgpr60_sgpr61
                                        ; implicit-def: $sgpr62_sgpr63
                                        ; implicit-def: $sgpr72_sgpr73
	s_branch .LBB4_529
.LBB4_526:                              ;   in Loop: Header=BB4_529 Depth=2
	s_waitcnt vmcnt(0) lgkmcnt(0)
	v_add_co_u32_e64 v0, s[20:21], 8, v22
	v_addc_co_u32_e64 v1, s[20:21], 0, v23, s[20:21]
	v_cmp_ge_u64_e64 s[20:21], v[0:1], v[34:35]
	s_or_b64 s[78:79], s[78:79], exec
	s_orn2_b64 s[76:77], s[20:21], exec
.LBB4_527:                              ;   in Loop: Header=BB4_529 Depth=2
	s_or_b64 exec, exec, s[90:91]
	s_andn2_b64 s[20:21], s[72:73], exec
	s_and_b64 s[72:73], s[78:79], exec
	s_or_b64 s[72:73], s[20:21], s[72:73]
	s_andn2_b64 s[20:21], s[62:63], exec
	s_and_b64 s[62:63], s[76:77], exec
	s_or_b64 s[62:63], s[20:21], s[62:63]
.LBB4_528:                              ;   in Loop: Header=BB4_529 Depth=2
	s_or_b64 exec, exec, s[74:75]
	s_and_b64 s[20:21], exec, s[62:63]
	s_or_b64 s[58:59], s[20:21], s[58:59]
	s_andn2_b64 s[20:21], s[60:61], exec
	s_and_b64 s[60:61], s[72:73], exec
	s_or_b64 s[60:61], s[20:21], s[60:61]
	s_andn2_b64 exec, exec, s[58:59]
	s_cbranch_execz .LBB4_533
.LBB4_529:                              ;   Parent Loop BB4_403 Depth=1
                                        ; =>  This Inner Loop Header: Depth=2
	s_sleep 1
	s_waitcnt vmcnt(0) lgkmcnt(0)
	flat_load_dwordx2 v[22:23], v[18:19] glc
	s_or_b64 s[72:73], s[72:73], exec
	s_or_b64 s[62:63], s[62:63], exec
                                        ; implicit-def: $vgpr2
	s_and_saveexec_b64 s[74:75], vcc
	s_cbranch_execz .LBB4_528
; %bb.530:                              ;   in Loop: Header=BB4_529 Depth=2
	s_cmpk_lt_i32 s92, 0x270f
	s_cselect_b64 s[88:89], -1, 0
	s_cmpk_gt_i32 s92, 0x270e
	s_mov_b64 s[76:77], -1
	s_cbranch_scc0 .LBB4_532
; %bb.531:                              ;   in Loop: Header=BB4_529 Depth=2
	s_trap 2
	ds_read_b64 v[0:1], v0
	s_andn2_b64 s[88:89], s[88:89], exec
	s_mov_b32 s92, 0
	s_mov_b64 s[78:79], 0
	s_waitcnt vmcnt(0) lgkmcnt(0)
	flat_load_dword v2, v[0:1] glc
	s_waitcnt vmcnt(0) lgkmcnt(0)
	buffer_wbinvl1_vol
	v_cmp_eq_u32_e64 s[20:21], 0, v2
	s_and_b64 s[20:21], s[20:21], exec
	s_or_b64 s[88:89], s[88:89], s[20:21]
	s_and_saveexec_b64 s[90:91], s[88:89]
	s_cbranch_execz .LBB4_527
	s_branch .LBB4_526
.LBB4_532:                              ;   in Loop: Header=BB4_529 Depth=2
	s_add_i32 s92, s92, 1
	s_mov_b64 s[78:79], -1
                                        ; implicit-def: $vgpr2
	s_and_saveexec_b64 s[90:91], s[88:89]
	s_cbranch_execz .LBB4_527
	s_branch .LBB4_526
.LBB4_533:                              ;   in Loop: Header=BB4_403 Depth=1
	s_or_b64 exec, exec, s[58:59]
	s_xor_b64 s[20:21], s[60:61], -1
	s_and_saveexec_b64 s[58:59], s[20:21]
	s_xor_b64 s[20:21], exec, s[58:59]
	s_cbranch_execz .LBB4_535
; %bb.534:                              ;   in Loop: Header=BB4_403 Depth=1
	v_or_b32_e32 v53, 64, v53
	s_waitcnt lgkmcnt(0)
	ds_write_b32 v0, v2
	s_trap 2
.LBB4_535:                              ;   in Loop: Header=BB4_403 Depth=1
	s_or_b64 exec, exec, s[20:21]
.LBB4_536:                              ;   in Loop: Header=BB4_403 Depth=1
	s_or_b64 exec, exec, s[56:57]
	v_and_b32_e32 v0, 0x100, v53
	v_cmp_ne_u32_e32 vcc, 0, v0
	v_and_b32_e32 v2, 7, v8
	s_mov_b64 s[20:21], -1
	;;#ASMSTART
	s_wakeup
	;;#ASMEND
                                        ; implicit-def: $vgpr8_vgpr9
	s_and_saveexec_b64 s[56:57], vcc
	s_cbranch_execz .LBB4_540
; %bb.537:                              ;   in Loop: Header=BB4_403 Depth=1
	v_mad_u64_u32 v[36:37], s[20:21], v2, 24, v[6:7]
	v_ashrrev_i32_e32 v33, 31, v32
	v_lshlrev_b64 v[0:1], 1, v[32:33]
	flat_load_dword v3, v[36:37]
                                        ; implicit-def: $vgpr8_vgpr9
	s_waitcnt vmcnt(0) lgkmcnt(0)
	v_cmp_ne_u32_e32 vcc, 1, v3
	v_cmp_eq_u32_e64 s[20:21], 1, v3
	flat_store_dwordx2 v[36:37], v[0:1] offset:8
	s_and_saveexec_b64 s[58:59], s[20:21]
	s_cbranch_execz .LBB4_539
; %bb.538:                              ;   in Loop: Header=BB4_403 Depth=1
	flat_load_dword v0, v[36:37] offset:4 glc
	s_waitcnt vmcnt(0) lgkmcnt(0)
	v_ashrrev_i32_e32 v1, 31, v0
	v_lshrrev_b64 v[8:9], 1, v[0:1]
.LBB4_539:                              ;   in Loop: Header=BB4_403 Depth=1
	s_or_b64 exec, exec, s[58:59]
	s_orn2_b64 s[20:21], vcc, exec
.LBB4_540:                              ;   in Loop: Header=BB4_403 Depth=1
	s_or_b64 exec, exec, s[56:57]
	s_and_saveexec_b64 s[56:57], s[20:21]
; %bb.541:                              ;   in Loop: Header=BB4_403 Depth=1
	v_mad_i64_i32 v[8:9], s[20:21], v2, v31, 0
; %bb.542:                              ;   in Loop: Header=BB4_403 Depth=1
	s_or_b64 exec, exec, s[56:57]
	v_lshlrev_b64 v[0:1], 1, v[8:9]
	v_add_co_u32_e32 v0, vcc, v14, v0
	v_addc_co_u32_e32 v1, vcc, v15, v1, vcc
	ds_write_b64 v0, v[0:1] offset:784
	v_and_b32_e32 v0, 0x2000, v53
	v_cmp_ne_u32_e32 vcc, 0, v0
	s_and_saveexec_b64 s[20:21], vcc
	s_cbranch_execz .LBB4_544
; %bb.543:                              ;   in Loop: Header=BB4_403 Depth=1
	ds_read_b64 v[0:1], v0 offset:872
	s_waitcnt lgkmcnt(0)
	v_add_co_u32_e32 v0, vcc, 1, v0
	v_addc_co_u32_e32 v1, vcc, 0, v1, vcc
	ds_write_b64 v0, v[0:1] offset:872
.LBB4_544:                              ;   in Loop: Header=BB4_403 Depth=1
	s_or_b64 exec, exec, s[20:21]
	v_mov_b32_e32 v8, v34
	v_mov_b32_e32 v9, v35
.LBB4_545:                              ;   in Loop: Header=BB4_403 Depth=1
	s_or_b64 exec, exec, s[44:45]
	s_and_saveexec_b64 s[20:21], s[10:11]
	s_cbranch_execz .LBB4_564
; %bb.546:                              ;   in Loop: Header=BB4_403 Depth=1
	s_and_saveexec_b64 s[44:45], s[28:29]
	s_xor_b64 s[44:45], exec, s[44:45]
	s_cbranch_execz .LBB4_561
; %bb.547:                              ;   in Loop: Header=BB4_403 Depth=1
	s_and_saveexec_b64 s[56:57], s[12:13]
	s_cbranch_execz .LBB4_560
; %bb.548:                              ;   in Loop: Header=BB4_403 Depth=1
	s_mov_b64 s[60:61], exec
	v_mbcnt_lo_u32_b32 v0, s60, 0
	v_mbcnt_hi_u32_b32 v0, s61, v0
	v_cmp_eq_u32_e32 vcc, 0, v0
	s_waitcnt vmcnt(0) lgkmcnt(0)
	buffer_wbinvl1_vol
	s_and_saveexec_b64 s[58:59], vcc
	s_cbranch_execz .LBB4_550
; %bb.549:                              ;   in Loop: Header=BB4_403 Depth=1
	s_bcnt1_i32_b64 s60, s[60:61]
	v_mov_b32_e32 v26, s60
	ds_add_u64 v0, v[26:27]
	s_trap 2
.LBB4_550:                              ;   in Loop: Header=BB4_403 Depth=1
	s_or_b64 exec, exec, s[58:59]
	s_trap 2
	ds_read_b64 v[0:1], v0
	s_waitcnt lgkmcnt(0)
	v_add_co_u32_e32 v20, vcc, v20, v30
	v_addc_co_u32_e32 v21, vcc, 0, v21, vcc
	v_cmp_lt_u64_e32 vcc, v[0:1], v[20:21]
	s_and_saveexec_b64 s[58:59], vcc
	s_cbranch_execz .LBB4_559
; %bb.551:                              ;   in Loop: Header=BB4_403 Depth=1
	s_mov_b32 s88, 0
	s_mov_b64 s[60:61], 0
                                        ; implicit-def: $sgpr62_sgpr63
                                        ; implicit-def: $sgpr72_sgpr73
	s_branch .LBB4_553
.LBB4_552:                              ;   in Loop: Header=BB4_553 Depth=2
	s_or_b64 exec, exec, s[76:77]
	s_and_b64 s[74:75], exec, s[78:79]
	s_or_b64 s[60:61], s[74:75], s[60:61]
	s_andn2_b64 s[62:63], s[62:63], exec
	s_and_b64 s[74:75], s[72:73], exec
	s_or_b64 s[62:63], s[62:63], s[74:75]
	s_andn2_b64 exec, exec, s[60:61]
	s_cbranch_execz .LBB4_557
.LBB4_553:                              ;   Parent Loop BB4_403 Depth=1
                                        ; =>  This Inner Loop Header: Depth=2
	s_add_i32 s88, s88, 1
	s_cmpk_lg_i32 s88, 0x2710
	s_cselect_b64 s[74:75], -1, 0
	s_and_b64 vcc, exec, s[74:75]
	s_cbranch_vccz .LBB4_555
; %bb.554:                              ;   in Loop: Header=BB4_553 Depth=2
	s_mov_b64 s[78:79], -1
	s_or_b64 s[72:73], s[72:73], exec
	s_and_saveexec_b64 s[76:77], s[74:75]
	s_cbranch_execz .LBB4_552
	s_branch .LBB4_556
.LBB4_555:                              ;   in Loop: Header=BB4_553 Depth=2
	s_trap 2
	ds_read_b64 v[0:1], v0
	s_andn2_b64 s[74:75], s[74:75], exec
	s_mov_b32 s88, 0
	s_waitcnt lgkmcnt(0)
	flat_load_dword v0, v[0:1] glc
	s_waitcnt vmcnt(0) lgkmcnt(0)
	buffer_wbinvl1_vol
	v_cmp_eq_u32_e32 vcc, 0, v0
	s_and_b64 s[76:77], vcc, exec
	s_or_b64 s[74:75], s[74:75], s[76:77]
	s_mov_b64 s[78:79], -1
	s_or_b64 s[72:73], s[72:73], exec
	s_and_saveexec_b64 s[76:77], s[74:75]
	s_cbranch_execz .LBB4_552
.LBB4_556:                              ;   in Loop: Header=BB4_553 Depth=2
	s_sleep 1
	s_trap 2
	ds_read_b64 v[0:1], v0
	s_waitcnt lgkmcnt(0)
	s_andn2_b64 s[72:73], s[72:73], exec
	v_cmp_ge_u64_e32 vcc, v[0:1], v[20:21]
	s_orn2_b64 s[78:79], vcc, exec
	s_branch .LBB4_552
.LBB4_557:                              ;   in Loop: Header=BB4_403 Depth=1
	s_or_b64 exec, exec, s[60:61]
	s_and_saveexec_b64 s[60:61], s[62:63]
	s_xor_b64 s[60:61], exec, s[60:61]
	s_cbranch_execz .LBB4_559
; %bb.558:                              ;   in Loop: Header=BB4_403 Depth=1
	ds_write_b32 v0, v39
	s_trap 2
.LBB4_559:                              ;   in Loop: Header=BB4_403 Depth=1
	s_or_b64 exec, exec, s[58:59]
	;;#ASMSTART
	s_wakeup
	;;#ASMEND
.LBB4_560:                              ;   in Loop: Header=BB4_403 Depth=1
	s_or_b64 exec, exec, s[56:57]
.LBB4_561:                              ;   in Loop: Header=BB4_403 Depth=1
	s_andn2_saveexec_b64 s[44:45], s[44:45]
	s_cbranch_execz .LBB4_563
; %bb.562:                              ;   in Loop: Header=BB4_403 Depth=1
	s_waitcnt vmcnt(0) lgkmcnt(0)
	buffer_wbinvl1_vol
	s_barrier
.LBB4_563:                              ;   in Loop: Header=BB4_403 Depth=1
	s_or_b64 exec, exec, s[44:45]
.LBB4_564:                              ;   in Loop: Header=BB4_403 Depth=1
	s_or_b64 exec, exec, s[20:21]
	s_trap 2
	ds_read_b32 v0, v0
	v_cmp_lt_i32_e32 vcc, 0, v32
	v_and_b32_e32 v2, 16, v53
	s_waitcnt lgkmcnt(0)
	v_readfirstlane_b32 s20, v0
	s_cmp_eq_u32 s20, 0
	s_cselect_b64 s[20:21], -1, 0
	s_and_b64 s[20:21], vcc, s[20:21]
	v_cmp_ne_u32_e32 vcc, 0, v2
	s_and_b64 s[44:45], vcc, s[20:21]
	s_and_saveexec_b64 s[20:21], s[44:45]
	s_cbranch_execz .LBB4_566
; %bb.565:                              ;   in Loop: Header=BB4_403 Depth=1
	s_waitcnt vmcnt(0)
	buffer_wbinvl1_vol
.LBB4_566:                              ;   in Loop: Header=BB4_403 Depth=1
	s_or_b64 exec, exec, s[20:21]
	v_cmp_ne_u32_e32 vcc, 0, v2
	s_and_saveexec_b64 s[20:21], vcc
	s_cbranch_execz .LBB4_401
; %bb.567:                              ;   in Loop: Header=BB4_403 Depth=1
	s_and_saveexec_b64 s[44:45], s[18:19]
	s_cbranch_execz .LBB4_400
; %bb.568:                              ;   in Loop: Header=BB4_403 Depth=1
	s_waitcnt vmcnt(0)
	flat_store_dword v[16:17], v39
	s_branch .LBB4_400
.LBB4_569:
	s_or_b64 exec, exec, s[40:41]
	buffer_load_dword v31, off, s[0:3], s33 offset:80 ; 4-byte Folded Reload
	buffer_load_dword v15, off, s[0:3], s33 offset:84 ; 4-byte Folded Reload
	;; [unrolled: 1-line block ×4, first 2 shown]
	s_waitcnt vmcnt(0)
	v_mov_b32_e32 v14, v52
.LBB4_570:
	s_or_b64 exec, exec, s[26:27]
.LBB4_571:
	s_or_b64 exec, exec, s[24:25]
	v_and_b32_e32 v0, 0x800, v53
	v_cmp_eq_u32_e32 vcc, 0, v0
	s_and_saveexec_b64 s[6:7], vcc
	s_cbranch_execz .LBB4_604
; %bb.572:
	v_and_b32_e32 v0, 48, v53
	v_cmp_ne_u32_e32 vcc, 0, v0
	s_and_saveexec_b64 s[4:5], vcc
	s_cbranch_execz .LBB4_574
; %bb.573:
	s_waitcnt vmcnt(0) lgkmcnt(0)
	flat_store_dwordx2 v[16:17], v[8:9] offset:104
.LBB4_574:
	s_or_b64 exec, exec, s[4:5]
	s_movk_i32 s4, 0x88
	v_and_b32_e32 v0, 0x88, v53
	v_cmp_eq_u32_e32 vcc, s4, v0
	s_and_saveexec_b64 s[10:11], vcc
	s_cbranch_execz .LBB4_584
; %bb.575:
	s_waitcnt vmcnt(0) lgkmcnt(0)
	v_add_u32_e32 v0, -1, v8
	v_and_b32_e32 v0, 7, v0
	v_mad_u64_u32 v[4:5], s[4:5], v0, 24, v[6:7]
	v_and_b32_e32 v2, 64, v53
	v_cmp_eq_u32_e64 s[4:5], 0, v2
	flat_load_dwordx2 v[0:1], v[4:5] offset:8 glc
	s_waitcnt vmcnt(0)
	s_mov_b32 s24, 0
	s_waitcnt lgkmcnt(0)
	v_cmp_ne_u64_e32 vcc, -1, v[0:1]
	s_and_b64 s[4:5], vcc, s[4:5]
	s_and_b64 exec, exec, s[4:5]
	s_cbranch_execz .LBB4_584
; %bb.576:
	s_mov_b64 s[4:5], 0
                                        ; implicit-def: $sgpr12_sgpr13
                                        ; implicit-def: $sgpr14_sgpr15
	s_branch .LBB4_579
.LBB4_577:                              ;   in Loop: Header=BB4_579 Depth=1
	flat_load_dwordx2 v[1:2], v[4:5] offset:8 glc
	s_waitcnt vmcnt(0)
	s_andn2_b64 s[14:15], s[14:15], exec
	s_waitcnt lgkmcnt(0)
	v_cmp_eq_u64_e32 vcc, -1, v[1:2]
	s_orn2_b64 s[18:19], vcc, exec
.LBB4_578:                              ;   in Loop: Header=BB4_579 Depth=1
	s_or_b64 exec, exec, s[20:21]
	s_and_b64 s[16:17], exec, s[18:19]
	s_or_b64 s[4:5], s[16:17], s[4:5]
	s_andn2_b64 s[12:13], s[12:13], exec
	s_and_b64 s[16:17], s[14:15], exec
	s_or_b64 s[12:13], s[12:13], s[16:17]
	s_andn2_b64 exec, exec, s[4:5]
	s_cbranch_execz .LBB4_582
.LBB4_579:                              ; =>This Inner Loop Header: Depth=1
	s_cmpk_lt_i32 s24, 0x270f
	s_cselect_b64 s[16:17], -1, 0
	s_and_b64 vcc, exec, s[16:17]
	s_cbranch_vccnz .LBB4_581
; %bb.580:                              ;   in Loop: Header=BB4_579 Depth=1
	s_trap 2
	ds_read_b64 v[0:1], v0
	s_andn2_b64 s[16:17], s[16:17], exec
	s_mov_b32 s24, 0
	s_waitcnt lgkmcnt(0)
	flat_load_dword v0, v[0:1] glc
	s_waitcnt vmcnt(0) lgkmcnt(0)
	buffer_wbinvl1_vol
	v_cmp_eq_u32_e32 vcc, 0, v0
	s_and_b64 s[18:19], vcc, exec
	s_or_b64 s[16:17], s[16:17], s[18:19]
	s_mov_b64 s[18:19], -1
	s_or_b64 s[14:15], s[14:15], exec
	s_and_saveexec_b64 s[20:21], s[16:17]
	s_cbranch_execz .LBB4_578
	s_branch .LBB4_577
.LBB4_581:                              ;   in Loop: Header=BB4_579 Depth=1
	s_add_i32 s24, s24, 1
                                        ; implicit-def: $vgpr0
	s_mov_b64 s[18:19], -1
	s_or_b64 s[14:15], s[14:15], exec
	s_and_saveexec_b64 s[20:21], s[16:17]
	s_cbranch_execz .LBB4_578
	s_branch .LBB4_577
.LBB4_582:
	s_or_b64 exec, exec, s[4:5]
	s_and_saveexec_b64 s[4:5], s[12:13]
	s_xor_b64 s[4:5], exec, s[4:5]
	s_cbranch_execz .LBB4_584
; %bb.583:
	ds_write_b32 v0, v0
	s_trap 2
.LBB4_584:
	s_or_b64 exec, exec, s[10:11]
	v_and_b32_e32 v0, 0x2000, v53
	v_cmp_ne_u32_e32 vcc, 0, v0
	s_and_saveexec_b64 s[4:5], vcc
	s_cbranch_execz .LBB4_586
; %bb.585:
	s_trap 2
	ds_read_b64 v[0:1], v0
	buffer_load_dword v2, off, s[0:3], s33 offset:100 ; 4-byte Folded Reload
	buffer_load_dword v3, off, s[0:3], s33 offset:104 ; 4-byte Folded Reload
	s_waitcnt vmcnt(0) lgkmcnt(0)
	flat_store_dwordx2 v[2:3], v[0:1] offset:16
.LBB4_586:
	s_or_b64 exec, exec, s[4:5]
	s_waitcnt vmcnt(0)
	v_cmp_ne_u32_e32 vcc, 64, v14
	s_and_b64 exec, exec, vcc
	s_cbranch_execz .LBB4_604
; %bb.587:
	v_cmp_ne_u32_sdwa s[4:5], v14, v15 src0_sel:DWORD src1_sel:WORD_0
	s_and_saveexec_b64 s[10:11], s[4:5]
	s_xor_b64 s[4:5], exec, s[10:11]
	s_cbranch_execz .LBB4_602
; %bb.588:
	v_and_b32_e32 v0, 63, v31
	v_cmp_eq_u32_e32 vcc, 0, v0
	s_and_saveexec_b64 s[10:11], vcc
	s_cbranch_execz .LBB4_601
; %bb.589:
	s_mov_b64 s[14:15], exec
	v_mbcnt_lo_u32_b32 v0, s14, 0
	v_mbcnt_hi_u32_b32 v0, s15, v0
	v_cmp_eq_u32_e32 vcc, 0, v0
	s_waitcnt lgkmcnt(0)
	buffer_wbinvl1_vol
	s_and_saveexec_b64 s[12:13], vcc
	s_cbranch_execz .LBB4_591
; %bb.590:
	s_bcnt1_i32_b64 s14, s[14:15]
	v_mov_b32_e32 v0, s14
	v_mov_b32_e32 v1, 0
	ds_add_u64 v0, v[0:1]
	s_trap 2
.LBB4_591:
	s_or_b64 exec, exec, s[12:13]
	v_lshrrev_b32_e32 v0, 6, v14
	s_trap 2
	ds_read_b64 v[2:3], v0
	s_waitcnt lgkmcnt(0)
	v_add_co_u32_e32 v0, vcc, v20, v0
	v_addc_co_u32_e32 v1, vcc, 0, v21, vcc
	v_cmp_lt_u64_e32 vcc, v[2:3], v[0:1]
	s_and_saveexec_b64 s[12:13], vcc
	s_cbranch_execz .LBB4_600
; %bb.592:
	s_mov_b32 s28, 0
	s_mov_b64 s[14:15], 0
                                        ; implicit-def: $sgpr16_sgpr17
                                        ; implicit-def: $sgpr18_sgpr19
	s_branch .LBB4_594
.LBB4_593:                              ;   in Loop: Header=BB4_594 Depth=1
	s_or_b64 exec, exec, s[24:25]
	s_and_b64 s[20:21], exec, s[26:27]
	s_or_b64 s[14:15], s[20:21], s[14:15]
	s_andn2_b64 s[16:17], s[16:17], exec
	s_and_b64 s[20:21], s[18:19], exec
	s_or_b64 s[16:17], s[16:17], s[20:21]
	s_andn2_b64 exec, exec, s[14:15]
	s_cbranch_execz .LBB4_598
.LBB4_594:                              ; =>This Inner Loop Header: Depth=1
	s_add_i32 s28, s28, 1
	s_cmpk_lg_i32 s28, 0x2710
	s_cselect_b64 s[20:21], -1, 0
	s_and_b64 vcc, exec, s[20:21]
	s_cbranch_vccz .LBB4_596
; %bb.595:                              ;   in Loop: Header=BB4_594 Depth=1
	s_mov_b64 s[26:27], -1
	s_or_b64 s[18:19], s[18:19], exec
	s_and_saveexec_b64 s[24:25], s[20:21]
	s_cbranch_execz .LBB4_593
	s_branch .LBB4_597
.LBB4_596:                              ;   in Loop: Header=BB4_594 Depth=1
	s_trap 2
	ds_read_b64 v[2:3], v0
	s_andn2_b64 s[20:21], s[20:21], exec
	s_mov_b32 s28, 0
	s_waitcnt lgkmcnt(0)
	flat_load_dword v2, v[2:3] glc
	s_waitcnt vmcnt(0) lgkmcnt(0)
	buffer_wbinvl1_vol
	v_cmp_eq_u32_e32 vcc, 0, v2
	s_and_b64 s[24:25], vcc, exec
	s_or_b64 s[20:21], s[20:21], s[24:25]
	s_mov_b64 s[26:27], -1
	s_or_b64 s[18:19], s[18:19], exec
	s_and_saveexec_b64 s[24:25], s[20:21]
	s_cbranch_execz .LBB4_593
.LBB4_597:                              ;   in Loop: Header=BB4_594 Depth=1
	s_sleep 1
	s_trap 2
	ds_read_b64 v[2:3], v0
	s_waitcnt lgkmcnt(0)
	s_andn2_b64 s[18:19], s[18:19], exec
	v_cmp_ge_u64_e32 vcc, v[2:3], v[0:1]
	s_orn2_b64 s[26:27], vcc, exec
	s_branch .LBB4_593
.LBB4_598:
	s_or_b64 exec, exec, s[14:15]
	s_and_saveexec_b64 s[14:15], s[16:17]
	s_xor_b64 s[14:15], exec, s[14:15]
	s_cbranch_execz .LBB4_600
; %bb.599:
	v_mov_b32_e32 v0, 1
	ds_write_b32 v0, v0
	s_trap 2
.LBB4_600:
	s_or_b64 exec, exec, s[12:13]
	;;#ASMSTART
	s_wakeup
	;;#ASMEND
.LBB4_601:
	s_or_b64 exec, exec, s[10:11]
.LBB4_602:
	s_andn2_saveexec_b64 s[4:5], s[4:5]
	s_cbranch_execz .LBB4_604
; %bb.603:
	s_waitcnt lgkmcnt(0)
	buffer_wbinvl1_vol
	s_barrier
.LBB4_604:
	s_or_b64 exec, exec, s[6:7]
.LBB4_605:
	s_andn2_saveexec_b64 s[26:27], s[22:23]
	s_cbranch_execz .LBB4_607
; %bb.606:
	s_getpc_b64 s[4:5]
	s_add_u32 s4, s4, __PRETTY_FUNCTION__._ZN10PrimitivesI6__half7FuncSumIS0_E12FanSymmetricILi1EELi0E11ProtoSimpleILi1ELi1ELi0ELi2ELi0ELi0EELi0ELb0ELi0ELi0ELi0EEC2EiiPKiS9_PKvPvmhhhP15ncclDevWorkCollP14ncclDevWorkP2pii@rel32@lo+4
	s_addc_u32 s5, s5, __PRETTY_FUNCTION__._ZN10PrimitivesI6__half7FuncSumIS0_E12FanSymmetricILi1EELi0E11ProtoSimpleILi1ELi1ELi0ELi2ELi0ELi0EELi0ELb0ELi0ELi0ELi0EEC2EiiPKiS9_PKvPvmhhhP15ncclDevWorkCollP14ncclDevWorkP2pii@rel32@hi+12
	s_getpc_b64 s[6:7]
	s_add_u32 s6, s6, __assert_fail@rel32@lo+4
	s_addc_u32 s7, s7, __assert_fail@rel32@hi+12
	v_mov_b32_e32 v0, s4
	v_mov_b32_e32 v1, s5
	s_swappc_b64 s[30:31], s[6:7]
	; divergent unreachable
.LBB4_607:
	s_or_b64 exec, exec, s[26:27]
	buffer_load_dword v62, off, s[0:3], s33 ; 4-byte Folded Reload
	buffer_load_dword v61, off, s[0:3], s33 offset:4 ; 4-byte Folded Reload
	buffer_load_dword v60, off, s[0:3], s33 offset:8 ; 4-byte Folded Reload
	;; [unrolled: 1-line block ×14, first 2 shown]
	v_readlane_b32 s30, v63, 9
	v_readlane_b32 s31, v63, 10
	;; [unrolled: 1-line block ×11, first 2 shown]
	s_mov_b32 s32, s33
	v_readlane_b32 s4, v63, 11
	s_or_saveexec_b64 s[6:7], -1
	buffer_load_dword v63, off, s[0:3], s33 offset:132 ; 4-byte Folded Reload
	s_mov_b64 exec, s[6:7]
	s_mov_b32 s33, s4
	s_waitcnt vmcnt(0) lgkmcnt(0)
	s_setpc_b64 s[30:31]
.Lfunc_end4:
	.size	_ZN12_GLOBAL__N_17runRingI6__half7FuncSumIS1_E11ProtoSimpleILi1ELi1ELi0ELi2ELi0ELi0EELi0ELi2ELi0EEEviiP15ncclDevWorkColl, .Lfunc_end4-_ZN12_GLOBAL__N_17runRingI6__half7FuncSumIS1_E11ProtoSimpleILi1ELi1ELi0ELi2ELi0ELi0EELi0ELi2ELi0EEEviiP15ncclDevWorkColl
                                        ; -- End function
	.set .L_ZN12_GLOBAL__N_17runRingI6__half7FuncSumIS1_E11ProtoSimpleILi1ELi1ELi0ELi2ELi0ELi0EELi0ELi2ELi0EEEviiP15ncclDevWorkColl.num_vgpr, max(64, .L__assert_fail.num_vgpr)
	.set .L_ZN12_GLOBAL__N_17runRingI6__half7FuncSumIS1_E11ProtoSimpleILi1ELi1ELi0ELi2ELi0ELi0EELi0ELi2ELi0EEEviiP15ncclDevWorkColl.num_agpr, max(0, .L__assert_fail.num_agpr)
	.set .L_ZN12_GLOBAL__N_17runRingI6__half7FuncSumIS1_E11ProtoSimpleILi1ELi1ELi0ELi2ELi0ELi0EELi0ELi2ELi0EEEviiP15ncclDevWorkColl.numbered_sgpr, max(96, .L__assert_fail.numbered_sgpr)
	.set .L_ZN12_GLOBAL__N_17runRingI6__half7FuncSumIS1_E11ProtoSimpleILi1ELi1ELi0ELi2ELi0ELi0EELi0ELi2ELi0EEEviiP15ncclDevWorkColl.num_named_barrier, max(0, .L__assert_fail.num_named_barrier)
	.set .L_ZN12_GLOBAL__N_17runRingI6__half7FuncSumIS1_E11ProtoSimpleILi1ELi1ELi0ELi2ELi0ELi0EELi0ELi2ELi0EEEviiP15ncclDevWorkColl.private_seg_size, 144+max(.L__assert_fail.private_seg_size)
	.set .L_ZN12_GLOBAL__N_17runRingI6__half7FuncSumIS1_E11ProtoSimpleILi1ELi1ELi0ELi2ELi0ELi0EELi0ELi2ELi0EEEviiP15ncclDevWorkColl.uses_vcc, or(1, .L__assert_fail.uses_vcc)
	.set .L_ZN12_GLOBAL__N_17runRingI6__half7FuncSumIS1_E11ProtoSimpleILi1ELi1ELi0ELi2ELi0ELi0EELi0ELi2ELi0EEEviiP15ncclDevWorkColl.uses_flat_scratch, or(0, .L__assert_fail.uses_flat_scratch)
	.set .L_ZN12_GLOBAL__N_17runRingI6__half7FuncSumIS1_E11ProtoSimpleILi1ELi1ELi0ELi2ELi0ELi0EELi0ELi2ELi0EEEviiP15ncclDevWorkColl.has_dyn_sized_stack, or(0, .L__assert_fail.has_dyn_sized_stack)
	.set .L_ZN12_GLOBAL__N_17runRingI6__half7FuncSumIS1_E11ProtoSimpleILi1ELi1ELi0ELi2ELi0ELi0EELi0ELi2ELi0EEEviiP15ncclDevWorkColl.has_recursion, or(1, .L__assert_fail.has_recursion)
	.set .L_ZN12_GLOBAL__N_17runRingI6__half7FuncSumIS1_E11ProtoSimpleILi1ELi1ELi0ELi2ELi0ELi0EELi0ELi2ELi0EEEviiP15ncclDevWorkColl.has_indirect_call, or(0, .L__assert_fail.has_indirect_call)
	.section	.AMDGPU.csdata,"",@progbits
; Function info:
; codeLenInByte = 19216
; TotalNumSgprs: 100
; NumVgprs: 64
; ScratchSize: 208
; MemoryBound: 1
	.text
	.p2align	2                               ; -- Begin function _Z44ncclDevFunc_Reduce_RING_SIMPLE_Sum_f16_0_0_2v
	.type	_Z44ncclDevFunc_Reduce_RING_SIMPLE_Sum_f16_0_0_2v,@function
_Z44ncclDevFunc_Reduce_RING_SIMPLE_Sum_f16_0_0_2v: ; @_Z44ncclDevFunc_Reduce_RING_SIMPLE_Sum_f16_0_0_2v
; %bb.0:
	s_waitcnt vmcnt(0) expcnt(0) lgkmcnt(0)
	s_mov_b32 s4, s33
	s_mov_b32 s33, s32
	s_or_saveexec_b64 s[6:7], -1
	buffer_store_dword v43, off, s[0:3], s33 offset:16 ; 4-byte Folded Spill
	s_mov_b64 exec, s[6:7]
	v_writelane_b32 v43, s4, 17
	s_addk_i32 s32, 0x800
	buffer_store_dword v40, off, s[0:3], s33 offset:12 ; 4-byte Folded Spill
	buffer_store_dword v41, off, s[0:3], s33 offset:8 ; 4-byte Folded Spill
	buffer_store_dword v42, off, s[0:3], s33 offset:4 ; 4-byte Folded Spill
	buffer_store_dword v63, off, s[0:3], s33 ; 4-byte Folded Spill
	v_writelane_b32 v43, s34, 0
	v_writelane_b32 v43, s35, 1
	;; [unrolled: 1-line block ×17, first 2 shown]
	s_trap 2
	ds_read_b32 v0, v0
	v_mov_b32_e32 v40, v31
	s_mov_b32 s51, s12
	s_mov_b64 s[52:53], s[8:9]
	s_waitcnt lgkmcnt(0)
	v_cmp_gt_i32_e32 vcc, 1, v0
	s_cbranch_vccnz .LBB5_8
; %bb.1:
	s_mov_b32 s64, 0
	v_and_b32_e32 v41, 0x3ff, v40
	v_mov_b32_e32 v42, 6
	s_branch .LBB5_3
.LBB5_2:                                ;   in Loop: Header=BB5_3 Depth=1
	s_or_b64 exec, exec, s[54:55]
	s_trap 2
	ds_read_b32 v0, v0
	s_add_i32 s64, s64, 1
	s_waitcnt lgkmcnt(0)
	v_cmp_lt_i32_e32 vcc, s64, v0
	s_cbranch_vccz .LBB5_8
.LBB5_3:                                ; =>This Inner Loop Header: Depth=1
	s_trap 2
	ds_read_b32 v0, v0
	s_cmp_eq_u32 s64, 0
	s_cbranch_scc1 .LBB5_6
; %bb.4:                                ;   in Loop: Header=BB5_3 Depth=1
	s_trap 2
	s_waitcnt lgkmcnt(0)
	ds_read_b32 v1, v0
	s_waitcnt lgkmcnt(0)
	v_xor_b32_e32 v1, v1, v0
	v_and_b32_e32 v1, 0xff0000, v1
	v_cmp_eq_u32_e32 vcc, 0, v1
	s_cbranch_vccnz .LBB5_6
; %bb.5:                                ;   in Loop: Header=BB5_3 Depth=1
	s_waitcnt vmcnt(0)
	s_barrier
	ds_read_b32 v0, v0
.LBB5_6:                                ;   in Loop: Header=BB5_3 Depth=1
	s_waitcnt lgkmcnt(0)
	v_lshlrev_b32_sdwa v1, v42, v0 dst_sel:DWORD dst_unused:UNUSED_PAD src0_sel:DWORD src1_sel:BYTE_2
	v_cmp_lt_u32_e32 vcc, v41, v1
	s_and_saveexec_b64 s[54:55], vcc
	s_cbranch_execz .LBB5_2
; %bb.7:                                ;   in Loop: Header=BB5_3 Depth=1
	s_mov_b64 s[4:5], src_shared_base
	s_getpc_b64 s[6:7]
	s_add_u32 s6, s6, _ZN12_GLOBAL__N_17runRingI6__half7FuncSumIS1_E11ProtoSimpleILi1ELi1ELi0ELi2ELi0ELi0EELi0ELi2ELi0EEEviiP15ncclDevWorkColl@rel32@lo+4
	s_addc_u32 s7, s7, _ZN12_GLOBAL__N_17runRingI6__half7FuncSumIS1_E11ProtoSimpleILi1ELi1ELi0ELi2ELi0ELi0EELi0ELi2ELi0EEEviiP15ncclDevWorkColl@rel32@hi+12
	s_mov_b64 s[8:9], s[52:53]
	s_mov_b32 s12, s51
	v_mov_b32_e32 v31, v40
	v_mov_b32_e32 v0, v41
	;; [unrolled: 1-line block ×3, first 2 shown]
	s_swappc_b64 s[30:31], s[6:7]
	s_branch .LBB5_2
.LBB5_8:
	buffer_load_dword v63, off, s[0:3], s33 ; 4-byte Folded Reload
	buffer_load_dword v42, off, s[0:3], s33 offset:4 ; 4-byte Folded Reload
	buffer_load_dword v41, off, s[0:3], s33 offset:8 ; 4-byte Folded Reload
	buffer_load_dword v40, off, s[0:3], s33 offset:12 ; 4-byte Folded Reload
	v_readlane_b32 s30, v43, 15
	v_readlane_b32 s31, v43, 16
	;; [unrolled: 1-line block ×17, first 2 shown]
	s_mov_b32 s32, s33
	v_readlane_b32 s4, v43, 17
	s_or_saveexec_b64 s[6:7], -1
	buffer_load_dword v43, off, s[0:3], s33 offset:16 ; 4-byte Folded Reload
	s_mov_b64 exec, s[6:7]
	s_mov_b32 s33, s4
	s_waitcnt vmcnt(0)
	s_setpc_b64 s[30:31]
.Lfunc_end5:
	.size	_Z44ncclDevFunc_Reduce_RING_SIMPLE_Sum_f16_0_0_2v, .Lfunc_end5-_Z44ncclDevFunc_Reduce_RING_SIMPLE_Sum_f16_0_0_2v
                                        ; -- End function
	.set .L_Z44ncclDevFunc_Reduce_RING_SIMPLE_Sum_f16_0_0_2v.num_vgpr, max(64, .L_ZN12_GLOBAL__N_17runRingI6__half7FuncSumIS1_E11ProtoSimpleILi1ELi1ELi0ELi2ELi0ELi0EELi0ELi2ELi0EEEviiP15ncclDevWorkColl.num_vgpr)
	.set .L_Z44ncclDevFunc_Reduce_RING_SIMPLE_Sum_f16_0_0_2v.num_agpr, max(0, .L_ZN12_GLOBAL__N_17runRingI6__half7FuncSumIS1_E11ProtoSimpleILi1ELi1ELi0ELi2ELi0ELi0EELi0ELi2ELi0EEEviiP15ncclDevWorkColl.num_agpr)
	.set .L_Z44ncclDevFunc_Reduce_RING_SIMPLE_Sum_f16_0_0_2v.numbered_sgpr, max(65, .L_ZN12_GLOBAL__N_17runRingI6__half7FuncSumIS1_E11ProtoSimpleILi1ELi1ELi0ELi2ELi0ELi0EELi0ELi2ELi0EEEviiP15ncclDevWorkColl.numbered_sgpr)
	.set .L_Z44ncclDevFunc_Reduce_RING_SIMPLE_Sum_f16_0_0_2v.num_named_barrier, max(0, .L_ZN12_GLOBAL__N_17runRingI6__half7FuncSumIS1_E11ProtoSimpleILi1ELi1ELi0ELi2ELi0ELi0EELi0ELi2ELi0EEEviiP15ncclDevWorkColl.num_named_barrier)
	.set .L_Z44ncclDevFunc_Reduce_RING_SIMPLE_Sum_f16_0_0_2v.private_seg_size, 32+max(.L_ZN12_GLOBAL__N_17runRingI6__half7FuncSumIS1_E11ProtoSimpleILi1ELi1ELi0ELi2ELi0ELi0EELi0ELi2ELi0EEEviiP15ncclDevWorkColl.private_seg_size)
	.set .L_Z44ncclDevFunc_Reduce_RING_SIMPLE_Sum_f16_0_0_2v.uses_vcc, or(1, .L_ZN12_GLOBAL__N_17runRingI6__half7FuncSumIS1_E11ProtoSimpleILi1ELi1ELi0ELi2ELi0ELi0EELi0ELi2ELi0EEEviiP15ncclDevWorkColl.uses_vcc)
	.set .L_Z44ncclDevFunc_Reduce_RING_SIMPLE_Sum_f16_0_0_2v.uses_flat_scratch, or(0, .L_ZN12_GLOBAL__N_17runRingI6__half7FuncSumIS1_E11ProtoSimpleILi1ELi1ELi0ELi2ELi0ELi0EELi0ELi2ELi0EEEviiP15ncclDevWorkColl.uses_flat_scratch)
	.set .L_Z44ncclDevFunc_Reduce_RING_SIMPLE_Sum_f16_0_0_2v.has_dyn_sized_stack, or(0, .L_ZN12_GLOBAL__N_17runRingI6__half7FuncSumIS1_E11ProtoSimpleILi1ELi1ELi0ELi2ELi0ELi0EELi0ELi2ELi0EEEviiP15ncclDevWorkColl.has_dyn_sized_stack)
	.set .L_Z44ncclDevFunc_Reduce_RING_SIMPLE_Sum_f16_0_0_2v.has_recursion, or(1, .L_ZN12_GLOBAL__N_17runRingI6__half7FuncSumIS1_E11ProtoSimpleILi1ELi1ELi0ELi2ELi0ELi0EELi0ELi2ELi0EEEviiP15ncclDevWorkColl.has_recursion)
	.set .L_Z44ncclDevFunc_Reduce_RING_SIMPLE_Sum_f16_0_0_2v.has_indirect_call, or(0, .L_ZN12_GLOBAL__N_17runRingI6__half7FuncSumIS1_E11ProtoSimpleILi1ELi1ELi0ELi2ELi0ELi0EELi0ELi2ELi0EEEviiP15ncclDevWorkColl.has_indirect_call)
	.section	.AMDGPU.csdata,"",@progbits
; Function info:
; codeLenInByte = 656
; TotalNumSgprs: 100
; NumVgprs: 64
; ScratchSize: 240
; MemoryBound: 0
	.text
	.p2align	2                               ; -- Begin function _ZN12_GLOBAL__N_17runRingI6__half7FuncSumIS1_E11ProtoSimpleILi1ELi1ELi0ELi4ELi0ELi0EELi0ELi4ELi0EEEviiP15ncclDevWorkColl
	.type	_ZN12_GLOBAL__N_17runRingI6__half7FuncSumIS1_E11ProtoSimpleILi1ELi1ELi0ELi4ELi0ELi0EELi0ELi4ELi0EEEviiP15ncclDevWorkColl,@function
_ZN12_GLOBAL__N_17runRingI6__half7FuncSumIS1_E11ProtoSimpleILi1ELi1ELi0ELi4ELi0ELi0EELi0ELi4ELi0EEEviiP15ncclDevWorkColl: ; @_ZN12_GLOBAL__N_17runRingI6__half7FuncSumIS1_E11ProtoSimpleILi1ELi1ELi0ELi4ELi0ELi0EELi0ELi4ELi0EEEviiP15ncclDevWorkColl
; %bb.0:
	s_waitcnt vmcnt(0) expcnt(0) lgkmcnt(0)
	s_mov_b32 s4, s33
	s_mov_b32 s33, s32
	s_or_saveexec_b64 s[6:7], -1
	buffer_store_dword v63, off, s[0:3], s33 offset:204 ; 4-byte Folded Spill
	s_mov_b64 exec, s[6:7]
	v_writelane_b32 v63, s4, 19
	s_addk_i32 s32, 0x3800
	buffer_store_dword v40, off, s[0:3], s33 offset:56 ; 4-byte Folded Spill
	buffer_store_dword v41, off, s[0:3], s33 offset:52 ; 4-byte Folded Spill
	;; [unrolled: 1-line block ×14, first 2 shown]
	buffer_store_dword v62, off, s[0:3], s33 ; 4-byte Folded Spill
	v_writelane_b32 v63, s34, 0
	v_writelane_b32 v63, s35, 1
	;; [unrolled: 1-line block ×19, first 2 shown]
	s_trap 2
	ds_read_b64 v[26:27], v0
	ds_read_b32 v6, v0
	v_mov_b32_e32 v14, v1
	v_mov_b32_e32 v40, v0
	flat_load_ushort v28, v[2:3] offset:8
	flat_load_dwordx2 v[8:9], v[2:3]
	s_waitcnt lgkmcnt(0)
	v_ashrrev_i32_e32 v1, 31, v27
	v_mov_b32_e32 v0, v27
	v_lshlrev_b64 v[0:1], 2, v[0:1]
                                        ; implicit-def: $vgpr29_vgpr30
                                        ; implicit-def: $vgpr41_vgpr42
                                        ; implicit-def: $vgpr50_vgpr51
	v_add_co_u32_e32 v0, vcc, v26, v0
	v_addc_co_u32_e32 v1, vcc, v27, v1, vcc
	v_add_co_u32_e32 v0, vcc, -4, v0
	v_addc_co_u32_e32 v1, vcc, -1, v1, vcc
	flat_load_dword v37, v[0:1]
	s_waitcnt vmcnt(0)
	v_mov_b32_e32 v27, v9
	v_cmp_ne_u32_sdwa s[4:5], v6, v8 src0_sel:DWORD src1_sel:BYTE_0
	s_and_saveexec_b64 s[6:7], s[4:5]
	s_xor_b64 s[4:5], exec, s[6:7]
	s_cbranch_execz .LBB6_6
; %bb.1:
	v_not_b32_sdwa v9, v8 dst_sel:DWORD dst_unused:UNUSED_PAD src0_sel:BYTE_0
	v_cmp_ne_u32_sdwa s[6:7], v6, v8 src0_sel:DWORD src1_sel:BYTE_1
                                        ; implicit-def: $vgpr29_vgpr30
                                        ; implicit-def: $vgpr41_vgpr42
                                        ; implicit-def: $vgpr50_vgpr51
	s_and_saveexec_b64 s[10:11], s[6:7]
	s_xor_b64 s[6:7], exec, s[10:11]
	s_cbranch_execz .LBB6_3
; %bb.2:
	flat_load_dwordx4 v[10:13], v[2:3] offset:72
	flat_load_dwordx2 v[0:1], v[2:3] offset:96
	v_add_u32_e32 v4, v6, v9
	v_ashrrev_i32_e32 v5, 31, v4
                                        ; implicit-def: $vgpr8
                                        ; implicit-def: $vgpr9
	s_waitcnt vmcnt(0) lgkmcnt(0)
	v_mul_lo_u32 v5, v12, v5
	v_mad_u64_u32 v[50:51], s[10:11], v12, v4, v[10:11]
	v_mul_lo_u32 v4, v13, v4
	v_mov_b32_e32 v42, v13
	v_lshrrev_b64 v[29:30], 13, v[0:1]
	v_mov_b32_e32 v41, v12
	v_add3_u32 v51, v4, v51, v5
.LBB6_3:
	s_andn2_saveexec_b64 s[6:7], s[6:7]
	s_cbranch_execz .LBB6_5
; %bb.4:
	flat_load_dwordx4 v[10:13], v[2:3] offset:72
	flat_load_dwordx4 v[41:44], v[2:3] offset:88
	v_add_u32_sdwa v0, v8, v9 dst_sel:DWORD dst_unused:UNUSED_PAD src0_sel:BYTE_1 src1_sel:DWORD
	v_ashrrev_i32_e32 v1, 31, v0
	s_waitcnt vmcnt(0) lgkmcnt(0)
	v_mul_lo_u32 v1, v12, v1
	v_mad_u64_u32 v[50:51], s[10:11], v12, v0, v[10:11]
	v_mul_lo_u32 v0, v13, v0
	v_lshrrev_b32_e32 v29, 2, v44
	v_add3_u32 v51, v0, v51, v1
.LBB6_5:
	s_or_b64 exec, exec, s[6:7]
.LBB6_6:
	s_andn2_saveexec_b64 s[4:5], s[4:5]
	s_cbranch_execz .LBB6_8
; %bb.7:
	flat_load_dwordx2 v[0:1], v[2:3] offset:96
	flat_load_dwordx2 v[41:42], v[2:3] offset:72
	v_mov_b32_e32 v50, 0
	v_mov_b32_e32 v51, 0
	s_waitcnt vmcnt(0) lgkmcnt(0)
	v_lshlrev_b64 v[29:30], 8, v[0:1]
.LBB6_8:
	s_or_b64 exec, exec, s[4:5]
	s_trap 2
	ds_read_b64 v[0:1], v0
	s_waitcnt lgkmcnt(0)
	v_cmp_ne_u32_e32 vcc, -1, v0
	v_cndmask_b32_e64 v36, 0, 1, vcc
	v_cmp_ne_u32_e32 vcc, -1, v1
	v_addc_co_u32_e64 v6, s[4:5], 0, v36, vcc
	v_lshlrev_b32_e32 v0, 1, v6
	v_cmp_le_u32_e64 s[4:5], v0, v14
	s_and_saveexec_b64 s[6:7], s[4:5]
	s_xor_b64 s[22:23], exec, s[6:7]
	s_cbranch_execz .LBB6_605
; %bb.9:
	flat_load_dwordx4 v[10:13], v[2:3] offset:16
	flat_load_dwordx2 v[32:33], v[2:3] offset:104
	s_trap 2
	s_load_dword s4, s[8:9], 0x0
	v_mov_b32_e32 v0, 0
	v_mov_b32_e32 v54, 4
	s_waitcnt lgkmcnt(0)
	s_cmp_lt_u32 s12, s4
	s_cselect_b32 s4, 12, 18
	s_add_u32 s4, s8, s4
	s_addc_u32 s5, s9, 0
	global_load_ushort v15, v0, s[4:5]
	ds_read_b32 v0, v0
	v_cmp_ge_i32_e64 s[4:5], v40, v36
	s_waitcnt lgkmcnt(0)
	v_readfirstlane_b32 s12, v0
	s_and_saveexec_b64 s[6:7], s[4:5]
	s_cbranch_execz .LBB6_19
; %bb.10:
	v_cmp_ge_u32_e64 s[4:5], v40, v6
                                        ; implicit-def: $vgpr54
	s_and_saveexec_b64 s[10:11], s[4:5]
	s_xor_b64 s[4:5], exec, s[10:11]
	s_cbranch_execz .LBB6_16
; %bb.11:
	v_cndmask_b32_e64 v0, 0, 1, vcc
	v_sub_u32_e32 v0, v14, v0
	v_cmp_ge_u32_e32 vcc, v40, v0
	s_and_saveexec_b64 s[10:11], vcc
	s_xor_b64 s[10:11], exec, s[10:11]
; %bb.12:
                                        ; implicit-def: $vgpr6
; %bb.13:
	s_or_saveexec_b64 s[10:11], s[10:11]
	v_mov_b32_e32 v54, 16
	s_xor_b64 exec, exec, s[10:11]
; %bb.14:
	v_sub_u32_e32 v0, v14, v6
	v_cmp_lt_i32_e32 vcc, v40, v0
	v_cndmask_b32_e64 v54, 32, 0, vcc
; %bb.15:
	s_or_b64 exec, exec, s[10:11]
.LBB6_16:
	s_andn2_saveexec_b64 s[4:5], s[4:5]
; %bb.17:
	v_mov_b32_e32 v54, 8
; %bb.18:
	s_or_b64 exec, exec, s[4:5]
.LBB6_19:
	s_or_b64 exec, exec, s[6:7]
	v_and_b32_e32 v0, 36, v54
	v_cmp_ne_u32_e32 vcc, 0, v0
	v_mov_b32_e32 v34, -1
	s_and_saveexec_b64 s[4:5], vcc
	s_cbranch_execz .LBB6_21
; %bb.20:
	s_trap 2
	ds_read_b32 v34, v0
.LBB6_21:
	s_or_b64 exec, exec, s[4:5]
	v_and_b32_e32 v0, 24, v54
	v_cmp_ne_u32_e64 s[4:5], 0, v0
	s_and_saveexec_b64 s[6:7], s[4:5]
	s_cbranch_execz .LBB6_23
; %bb.22:
	s_trap 2
	s_waitcnt lgkmcnt(0)
	ds_read_b32 v34, v0
.LBB6_23:
	s_or_b64 exec, exec, s[6:7]
	v_lshrrev_b64 v[0:1], 31, v[27:28]
	v_mov_b32_e32 v43, 0
	v_mov_b32_e32 v46, 0
	v_mov_b32_e32 v44, 0
	v_and_b32_e32 v2, 3, v0
	v_mov_b32_e32 v47, 0
	s_waitcnt lgkmcnt(0)
	v_ashrrev_i32_e32 v35, 31, v34
                                        ; implicit-def: $vgpr0_vgpr1
                                        ; kill: killed $vgpr0_vgpr1
                                        ; implicit-def: $vgpr59
                                        ; implicit-def: $vgpr22_vgpr23
                                        ; implicit-def: $vgpr0_vgpr1
                                        ; kill: killed $vgpr0_vgpr1
                                        ; implicit-def: $vgpr18_vgpr19
	s_and_saveexec_b64 s[4:5], vcc
	s_cbranch_execz .LBB6_33
; %bb.24:
	s_trap 2
	ds_read_b64 v[0:1], v0
	v_lshlrev_b64 v[3:4], 3, v[34:35]
	s_movk_i32 s6, 0xa8
	s_waitcnt lgkmcnt(0)
	v_add_co_u32_e32 v0, vcc, v0, v3
	v_addc_co_u32_e32 v1, vcc, v1, v4, vcc
	flat_load_dwordx2 v[0:1], v[0:1]
	v_and_b32_e32 v3, 0xffff, v2
	s_waitcnt vmcnt(0) lgkmcnt(0)
	v_mad_u64_u32 v[24:25], s[6:7], v3, s6, v[0:1]
	flat_load_dword v0, v[24:25] offset:640
	s_waitcnt vmcnt(0) lgkmcnt(0)
	v_cmp_eq_u32_e32 vcc, 1, v0
                                        ; implicit-def: $vgpr0_vgpr1
                                        ; kill: killed $vgpr0_vgpr1
	s_and_saveexec_b64 s[6:7], vcc
	s_cbranch_execz .LBB6_26
; %bb.25:
	flat_load_dwordx2 v[3:4], v[24:25] offset:648
	v_or_b32_e32 v54, 0x2000, v54
	s_waitcnt vmcnt(0) lgkmcnt(0)
	flat_load_dwordx2 v[0:1], v[3:4]
	s_trap 2
	s_waitcnt vmcnt(0) lgkmcnt(0)
	ds_write_b64 v0, v[0:1]
	flat_load_dwordx2 v[0:1], v[3:4] offset:8
	s_waitcnt vmcnt(0) lgkmcnt(0)
	ds_write_b64 v0, v[0:1]
	buffer_store_dword v3, off, s[0:3], s33 offset:176 ; 4-byte Folded Spill
	s_nop 0
	buffer_store_dword v4, off, s[0:3], s33 offset:180 ; 4-byte Folded Spill
	flat_load_dwordx2 v[0:1], v[3:4] offset:16
	s_waitcnt vmcnt(0) lgkmcnt(0)
	ds_write_b64 v0, v[0:1]
.LBB6_26:
	s_or_b64 exec, exec, s[6:7]
	flat_load_dwordx2 v[48:49], v[24:25] offset:608
	v_and_b32_e32 v0, 32, v54
	v_cmp_ne_u32_e32 vcc, 0, v0
                                        ; implicit-def: $vgpr18_vgpr19
	s_and_saveexec_b64 s[6:7], vcc
	s_cbranch_execz .LBB6_28
; %bb.27:
	flat_load_dwordx2 v[18:19], v[24:25] offset:560
	s_waitcnt vmcnt(0) lgkmcnt(0)
	flat_store_dwordx2 v[18:19], v[48:49]
.LBB6_28:
	s_or_b64 exec, exec, s[6:7]
	v_add_co_u32_e32 v43, vcc, 0x1f8, v24
	v_addc_co_u32_e32 v44, vcc, 0, v25, vcc
	v_and_b32_e32 v0, 4, v54
	v_mov_b32_e32 v46, 0
	v_mov_b32_e32 v47, 0
	v_cmp_ne_u32_e32 vcc, 0, v0
                                        ; implicit-def: $vgpr59
                                        ; implicit-def: $vgpr22_vgpr23
                                        ; implicit-def: $vgpr0_vgpr1
                                        ; kill: killed $vgpr0_vgpr1
	s_and_saveexec_b64 s[6:7], vcc
	s_cbranch_execz .LBB6_32
; %bb.29:
	v_and_b32_e32 v0, 0x800, v54
	v_cmp_eq_u32_e32 vcc, 0, v0
	s_and_saveexec_b64 s[10:11], vcc
	s_cbranch_execz .LBB6_31
; %bb.30:
	s_trap 2
	ds_write_b64 v0, v[43:44]
.LBB6_31:
	s_or_b64 exec, exec, s[10:11]
	flat_load_dwordx2 v[18:19], v[24:25] offset:552
	v_or_b32_e32 v1, 0x100, v54
	s_waitcnt vmcnt(0) lgkmcnt(0)
	flat_load_dwordx2 v[22:23], v[18:19] glc
	flat_load_dword v0, v[24:25] offset:576
	flat_load_dwordx2 v[46:47], v[24:25] offset:600
	flat_load_dwordx2 v[3:4], v[24:25] offset:520
	s_waitcnt vmcnt(0) lgkmcnt(0)
	buffer_store_dword v3, off, s[0:3], s33 offset:76 ; 4-byte Folded Spill
	s_nop 0
	buffer_store_dword v4, off, s[0:3], s33 offset:80 ; 4-byte Folded Spill
	v_cmp_eq_u64_e32 vcc, 0, v[46:47]
	v_ashrrev_i32_e32 v59, 1, v0
	v_cndmask_b32_e32 v54, v1, v54, vcc
.LBB6_32:
	s_or_b64 exec, exec, s[6:7]
.LBB6_33:
	s_or_b64 exec, exec, s[4:5]
	v_and_b32_e32 v0, 24, v54
	v_cmp_ne_u32_e32 vcc, 0, v0
                                        ; implicit-def: $vgpr6_vgpr7
	s_and_saveexec_b64 s[4:5], vcc
	s_cbranch_execz .LBB6_41
; %bb.34:
	s_trap 2
	ds_read_b64 v[0:1], v0
	v_lshlrev_b64 v[3:4], 3, v[34:35]
	v_and_b32_e32 v2, 0xffff, v2
	s_movk_i32 s6, 0xa8
                                        ; implicit-def: $vgpr6_vgpr7
	s_waitcnt lgkmcnt(0)
	v_add_co_u32_e32 v0, vcc, v0, v3
	v_addc_co_u32_e32 v1, vcc, v1, v4, vcc
	flat_load_dwordx2 v[0:1], v[0:1]
	s_waitcnt vmcnt(0) lgkmcnt(0)
	v_mad_u64_u32 v[43:44], s[6:7], v2, s6, v[0:1]
	v_or_b32_e32 v0, 0x100, v54
	flat_load_dwordx4 v[46:49], v[43:44] offset:96
	s_waitcnt vmcnt(0) lgkmcnt(0)
	v_cmp_eq_u64_e32 vcc, 0, v[46:47]
	v_cndmask_b32_e32 v54, v0, v54, vcc
	v_and_b32_e32 v0, 16, v54
	v_cmp_ne_u32_e32 vcc, 0, v0
	s_and_saveexec_b64 s[6:7], vcc
	s_cbranch_execz .LBB6_36
; %bb.35:
	flat_load_dwordx2 v[18:19], v[43:44] offset:48
	flat_load_dwordx2 v[6:7], v[43:44] offset:120
	;; [unrolled: 1-line block ×3, first 2 shown]
	s_waitcnt vmcnt(0) lgkmcnt(0)
	buffer_store_dword v0, off, s[0:3], s33 offset:76 ; 4-byte Folded Spill
	s_nop 0
	buffer_store_dword v1, off, s[0:3], s33 offset:80 ; 4-byte Folded Spill
.LBB6_36:
	s_or_b64 exec, exec, s[6:7]
	v_and_b32_e32 v0, 8, v54
	v_cmp_ne_u32_e32 vcc, 0, v0
	s_and_saveexec_b64 s[6:7], vcc
	s_cbranch_execz .LBB6_40
; %bb.37:
	v_and_b32_e32 v0, 0x800, v54
	v_cmp_eq_u32_e32 vcc, 0, v0
	s_and_saveexec_b64 s[10:11], vcc
	s_cbranch_execz .LBB6_39
; %bb.38:
	s_trap 2
	ds_write_b64 v0, v[43:44]
.LBB6_39:
	s_or_b64 exec, exec, s[10:11]
	flat_load_dwordx2 v[18:19], v[43:44] offset:56
	s_waitcnt vmcnt(0) lgkmcnt(0)
	flat_load_dwordx2 v[22:23], v[18:19] glc
	flat_load_dword v0, v[43:44] offset:72
	flat_load_dwordx2 v[1:2], v[43:44] offset:16
	s_waitcnt vmcnt(0) lgkmcnt(0)
	buffer_store_dword v1, off, s[0:3], s33 offset:76 ; 4-byte Folded Spill
	s_nop 0
	buffer_store_dword v2, off, s[0:3], s33 offset:80 ; 4-byte Folded Spill
	v_ashrrev_i32_e32 v59, 1, v0
.LBB6_40:
	s_or_b64 exec, exec, s[6:7]
.LBB6_41:
	s_or_b64 exec, exec, s[4:5]
	v_cmp_eq_u32_e64 s[4:5], 0, v40
	s_and_saveexec_b64 s[6:7], s[4:5]
	s_cbranch_execz .LBB6_43
; %bb.42:
	s_waitcnt vmcnt(0)
	v_mov_b32_e32 v0, v12
	v_mov_b32_e32 v1, v13
	;; [unrolled: 1-line block ×4, first 2 shown]
	ds_write2_b64 v0, v[0:1], v[2:3] offset1:1
	v_mov_b32_e32 v0, 0
	v_mov_b32_e32 v1, v0
	s_trap 2
	ds_write_b64 v0, v[0:1]
	ds_write_b64 v0, v[32:33]
.LBB6_43:
	s_or_b64 exec, exec, s[6:7]
	s_ashr_i32 s6, s12, 31
	s_lshr_b32 s6, s6, 29
	s_add_i32 s12, s12, s6
	s_waitcnt vmcnt(0)
	v_and_b32_e32 v12, 0x1fffff00, v29
	v_mov_b32_e32 v13, 0
	s_ashr_i32 s30, s12, 4
	v_bfe_u32 v2, v27, 1, 30
	v_cmp_ne_u32_e32 vcc, v37, v2
                                        ; implicit-def: $vgpr20_vgpr21
	s_mov_b64 s[6:7], exec
	buffer_load_dword v10, off, s[0:3], s33 offset:76 ; 4-byte Folded Reload
	buffer_load_dword v11, off, s[0:3], s33 offset:80 ; 4-byte Folded Reload
	s_and_b64 s[10:11], s[6:7], vcc
	s_xor_b64 s[24:25], s[10:11], s[6:7]
	s_mov_b64 exec, s[10:11]
	s_cbranch_execz .LBB6_397
; %bb.44:
	v_cmp_ne_u32_e32 vcc, v26, v2
                                        ; implicit-def: $vgpr20_vgpr21
	s_and_saveexec_b64 s[6:7], vcc
	s_xor_b64 s[26:27], exec, s[6:7]
	s_cbranch_execz .LBB6_226
; %bb.45:
	v_mov_b32_e32 v20, 0
	v_cmp_ne_u64_e32 vcc, 0, v[41:42]
	v_mov_b32_e32 v21, 0
	s_and_saveexec_b64 s[28:29], vcc
	s_cbranch_execz .LBB6_225
; %bb.46:
	v_and_b32_e32 v0, 63, v31
	v_cmp_eq_u32_e64 s[12:13], 0, v0
	v_ashrrev_i32_e32 v0, 31, v40
	v_lshrrev_b32_e32 v0, 26, v0
	v_add_u32_e32 v0, v40, v0
	v_and_b32_e32 v1, 0xffffffc0, v0
	v_ashrrev_i32_e32 v56, 6, v0
	v_sub_u32_e32 v1, v40, v1
	v_lshlrev_b32_e32 v0, 12, v56
	v_lshl_add_u32 v0, v1, 4, v0
	s_trap 2
	s_lshr_b32 s6, s30, 27
	buffer_store_dword v0, off, s[0:3], s33 offset:196 ; 4-byte Folded Spill
	v_ashrrev_i32_e32 v0, 31, v0
	s_add_i32 s6, s30, s6
	v_cmp_eq_u32_e32 vcc, 64, v14
	v_lshrrev_b32_e32 v39, 6, v14
	v_cmp_le_i32_e64 s[14:15], v1, v36
	v_cmp_lt_i32_e64 s[16:17], v1, v36
	buffer_store_dword v1, off, s[0:3], s33 offset:192 ; 4-byte Folded Spill
	buffer_store_dword v0, off, s[0:3], s33 offset:200 ; 4-byte Folded Spill
	v_lshlrev_b32_e32 v0, 1, v14
	v_cmp_eq_u64_e64 s[18:19], 0, v[6:7]
	v_mov_b32_e32 v28, 0
	v_mov_b32_e32 v20, 0
	;; [unrolled: 1-line block ×3, first 2 shown]
	s_ashr_i32 s31, s6, 5
	v_cmp_ge_i32_e64 s[6:7], v40, v14
	v_ashrrev_i32_e32 v45, 31, v59
	v_cmp_ne_u32_e64 s[10:11], 64, v14
	v_cmp_ne_u32_sdwa s[40:41], v14, v15 src0_sel:DWORD src1_sel:WORD_0
	v_mov_b32_e32 v24, 0
	v_lshlrev_b32_e32 v53, 12, v39
	v_lshlrev_b32_e32 v62, 10, v39
	;; [unrolled: 1-line block ×3, first 2 shown]
	v_and_b32_e32 v0, 0x7f80, v0
	s_mov_b64 s[42:43], 0
	v_mov_b32_e32 v29, 0
	v_mov_b32_e32 v21, 0
	s_movk_i32 s34, 0x108
	v_mov_b32_e32 v26, 1
	s_xor_b64 s[44:45], vcc, -1
	s_movk_i32 s35, 0xfc00
	s_movk_i32 s36, 0xf880
	;; [unrolled: 1-line block ×15, first 2 shown]
	v_mov_b32_e32 v30, 0xc8
	v_mov_b32_e32 v52, 0x90
	;; [unrolled: 1-line block ×3, first 2 shown]
	buffer_store_dword v40, off, s[0:3], s33 offset:128 ; 4-byte Folded Spill
	buffer_store_dword v1, off, s[0:3], s33 offset:100 ; 4-byte Folded Spill
	s_nop 0
	buffer_store_dword v2, off, s[0:3], s33 offset:104 ; 4-byte Folded Spill
	buffer_store_dword v3, off, s[0:3], s33 offset:108 ; 4-byte Folded Spill
	;; [unrolled: 1-line block ×4, first 2 shown]
	s_nop 0
	buffer_store_dword v51, off, s[0:3], s33 offset:124 ; 4-byte Folded Spill
	buffer_store_dword v59, off, s[0:3], s33 offset:116 ; 4-byte Folded Spill
	;; [unrolled: 1-line block ×3, first 2 shown]
	s_nop 0
	buffer_store_dword v13, off, s[0:3], s33 offset:96 ; 4-byte Folded Spill
	buffer_store_dword v6, off, s[0:3], s33 offset:84 ; 4-byte Folded Spill
	s_nop 0
	buffer_store_dword v7, off, s[0:3], s33 offset:88 ; 4-byte Folded Spill
	buffer_store_dword v45, off, s[0:3], s33 offset:172 ; 4-byte Folded Spill
	;; [unrolled: 1-line block ×7, first 2 shown]
	s_nop 0
	buffer_store_dword v44, off, s[0:3], s33 offset:148 ; 4-byte Folded Spill
	s_branch .LBB6_49
.LBB6_47:                               ;   in Loop: Header=BB6_49 Depth=1
	s_or_b64 exec, exec, s[20:21]
.LBB6_48:                               ;   in Loop: Header=BB6_49 Depth=1
	s_or_b64 exec, exec, s[56:57]
	v_add_co_u32_e32 v28, vcc, v28, v12
	v_addc_co_u32_e32 v29, vcc, 0, v29, vcc
	v_cmp_ge_u64_e32 vcc, v[28:29], v[41:42]
	s_or_b64 s[42:43], vcc, s[42:43]
	s_andn2_b64 exec, exec, s[42:43]
	s_cbranch_execz .LBB6_224
.LBB6_49:                               ; =>This Loop Header: Depth=1
                                        ;     Child Loop BB6_58 Depth 2
                                        ;     Child Loop BB6_86 Depth 2
	;; [unrolled: 1-line block ×10, first 2 shown]
	v_sub_co_u32_e32 v1, vcc, v41, v28
	v_subb_co_u32_e32 v2, vcc, v42, v29, vcc
	v_cmp_lt_u64_e32 vcc, v[12:13], v[1:2]
	v_cndmask_b32_e64 v33, v2, 0, vcc
	v_cndmask_b32_e32 v32, v1, v12, vcc
	v_cmp_eq_u64_e32 vcc, 0, v[32:33]
	v_add_u32_e32 v1, 15, v32
	v_and_b32_e32 v1, 0x3ffffff0, v1
	s_or_b64 s[46:47], s[6:7], vcc
	v_max_i32_e32 v58, s31, v1
	s_xor_b64 s[20:21], s[46:47], -1
	v_mov_b32_e32 v2, 0
	s_and_saveexec_b64 s[56:57], s[20:21]
	s_cbranch_execz .LBB6_172
; %bb.50:                               ;   in Loop: Header=BB6_49 Depth=1
	s_and_saveexec_b64 s[20:21], s[4:5]
	s_cbranch_execz .LBB6_52
; %bb.51:                               ;   in Loop: Header=BB6_49 Depth=1
	s_trap 2
	ds_read_b64 v[1:2], v0
	v_lshlrev_b64 v[3:4], 1, v[50:51]
	v_mov_b32_e32 v25, v24
	ds_write_b64 v0, v[24:25]
	s_waitcnt lgkmcnt(0)
	v_add_co_u32_e32 v3, vcc, v1, v3
	v_addc_co_u32_e32 v4, vcc, v2, v4, vcc
	v_lshlrev_b64 v[1:2], 1, v[28:29]
	v_add_co_u32_e32 v1, vcc, v3, v1
	v_addc_co_u32_e32 v2, vcc, v4, v2, vcc
	ds_write_b64 v0, v[1:2]
.LBB6_52:                               ;   in Loop: Header=BB6_49 Depth=1
	s_or_b64 exec, exec, s[20:21]
	v_and_b32_e32 v1, 12, v54
	v_min_u32_e32 v58, v58, v32
	v_cmp_ne_u32_e32 vcc, 0, v1
	s_and_saveexec_b64 s[58:59], vcc
	s_cbranch_execz .LBB6_78
; %bb.53:                               ;   in Loop: Header=BB6_49 Depth=1
	v_and_b32_e32 v2, 8, v54
	v_add_co_u32_e32 v3, vcc, v22, v2
	v_addc_co_u32_e32 v4, vcc, 0, v23, vcc
	s_waitcnt lgkmcnt(0)
	v_add_co_u32_e32 v33, vcc, 1, v48
	v_addc_co_u32_e32 v34, vcc, 0, v49, vcc
	v_cmp_lt_u64_e32 vcc, v[3:4], v[33:34]
	s_and_saveexec_b64 s[60:61], vcc
	s_cbranch_execz .LBB6_65
; %bb.54:                               ;   in Loop: Header=BB6_49 Depth=1
	v_and_b32_e32 v1, 64, v54
	s_mov_b32 s66, 0
	v_cmp_eq_u32_e32 vcc, 0, v1
	s_mov_b64 s[62:63], 0
                                        ; implicit-def: $sgpr72_sgpr73
                                        ; implicit-def: $sgpr74_sgpr75
                                        ; implicit-def: $sgpr76_sgpr77
	s_branch .LBB6_58
.LBB6_55:                               ;   in Loop: Header=BB6_58 Depth=2
	s_waitcnt vmcnt(0) lgkmcnt(0)
	v_add_co_u32_e64 v4, s[20:21], v22, v2
	v_addc_co_u32_e64 v5, s[20:21], 0, v23, s[20:21]
	v_cmp_ge_u64_e64 s[20:21], v[4:5], v[33:34]
	s_or_b64 s[90:91], s[90:91], exec
	s_orn2_b64 s[88:89], s[20:21], exec
.LBB6_56:                               ;   in Loop: Header=BB6_58 Depth=2
	s_or_b64 exec, exec, s[94:95]
	s_andn2_b64 s[20:21], s[76:77], exec
	s_and_b64 s[76:77], s[90:91], exec
	s_or_b64 s[76:77], s[20:21], s[76:77]
	s_andn2_b64 s[20:21], s[74:75], exec
	s_and_b64 s[74:75], s[88:89], exec
	s_or_b64 s[74:75], s[20:21], s[74:75]
.LBB6_57:                               ;   in Loop: Header=BB6_58 Depth=2
	s_or_b64 exec, exec, s[78:79]
	s_and_b64 s[20:21], exec, s[74:75]
	s_or_b64 s[62:63], s[20:21], s[62:63]
	s_andn2_b64 s[20:21], s[72:73], exec
	s_and_b64 s[72:73], s[76:77], exec
	s_or_b64 s[72:73], s[20:21], s[72:73]
	s_andn2_b64 exec, exec, s[62:63]
	s_cbranch_execz .LBB6_62
.LBB6_58:                               ;   Parent Loop BB6_49 Depth=1
                                        ; =>  This Inner Loop Header: Depth=2
	s_sleep 1
	s_waitcnt vmcnt(0) lgkmcnt(0)
	flat_load_dwordx2 v[22:23], v[18:19] glc
	s_or_b64 s[76:77], s[76:77], exec
	s_or_b64 s[74:75], s[74:75], exec
                                        ; implicit-def: $vgpr3
	s_and_saveexec_b64 s[78:79], vcc
	s_cbranch_execz .LBB6_57
; %bb.59:                               ;   in Loop: Header=BB6_58 Depth=2
	s_cmpk_lt_i32 s66, 0x270f
	s_cselect_b64 s[92:93], -1, 0
	s_cmpk_gt_i32 s66, 0x270e
	s_mov_b64 s[88:89], -1
	s_cbranch_scc0 .LBB6_61
; %bb.60:                               ;   in Loop: Header=BB6_58 Depth=2
	s_trap 2
	ds_read_b64 v[3:4], v0
	s_andn2_b64 s[92:93], s[92:93], exec
	s_mov_b32 s66, 0
	s_mov_b64 s[90:91], 0
	s_waitcnt vmcnt(0) lgkmcnt(0)
	flat_load_dword v3, v[3:4] glc
	s_waitcnt vmcnt(0) lgkmcnt(0)
	buffer_wbinvl1_vol
	v_cmp_eq_u32_e64 s[20:21], 0, v3
	s_and_b64 s[20:21], s[20:21], exec
	s_or_b64 s[92:93], s[92:93], s[20:21]
	s_and_saveexec_b64 s[94:95], s[92:93]
	s_cbranch_execz .LBB6_56
	s_branch .LBB6_55
.LBB6_61:                               ;   in Loop: Header=BB6_58 Depth=2
	s_add_i32 s66, s66, 1
	s_mov_b64 s[90:91], -1
                                        ; implicit-def: $vgpr3
	s_and_saveexec_b64 s[94:95], s[92:93]
	s_cbranch_execz .LBB6_56
	s_branch .LBB6_55
.LBB6_62:                               ;   in Loop: Header=BB6_49 Depth=1
	s_or_b64 exec, exec, s[62:63]
	s_xor_b64 s[20:21], s[72:73], -1
	s_and_saveexec_b64 s[62:63], s[20:21]
	s_xor_b64 s[20:21], exec, s[62:63]
	s_cbranch_execz .LBB6_64
; %bb.63:                               ;   in Loop: Header=BB6_49 Depth=1
	v_or_b32_e32 v54, 64, v54
	s_waitcnt lgkmcnt(0)
	ds_write_b32 v0, v3
	s_trap 2
.LBB6_64:                               ;   in Loop: Header=BB6_49 Depth=1
	s_or_b64 exec, exec, s[20:21]
.LBB6_65:                               ;   in Loop: Header=BB6_49 Depth=1
	s_or_b64 exec, exec, s[60:61]
	v_and_b32_e32 v1, 0x108, v54
	v_cmp_ne_u32_e32 vcc, s34, v1
	v_and_b32_e32 v3, 7, v48
	;;#ASMSTART
	s_wakeup
	;;#ASMEND
	s_and_saveexec_b64 s[20:21], vcc
	s_xor_b64 s[20:21], exec, s[20:21]
                                        ; implicit-def: $vgpr27
; %bb.66:                               ;   in Loop: Header=BB6_49 Depth=1
	v_mov_b32_e32 v27, v24
; %bb.67:                               ;   in Loop: Header=BB6_49 Depth=1
	s_andn2_saveexec_b64 s[20:21], s[20:21]
	s_cbranch_execz .LBB6_69
; %bb.68:                               ;   in Loop: Header=BB6_49 Depth=1
	v_mad_u64_u32 v[4:5], s[60:61], v3, 24, v[46:47]
	v_lshlrev_b32_e32 v6, 1, v58
	v_mov_b32_e32 v7, v24
	flat_store_dwordx2 v[4:5], v[6:7] offset:8
	buffer_load_dword v6, off, s[0:3], s33 offset:84 ; 4-byte Folded Reload
	s_nop 0
	buffer_load_dword v7, off, s[0:3], s33 offset:88 ; 4-byte Folded Reload
	v_mov_b32_e32 v27, v24
.LBB6_69:                               ;   in Loop: Header=BB6_49 Depth=1
	s_or_b64 exec, exec, s[20:21]
	v_and_b32_e32 v1, 0x100, v54
	v_cmp_ne_u32_e32 vcc, 0, v1
	s_mov_b64 s[20:21], -1
                                        ; implicit-def: $vgpr8_vgpr9
	s_and_saveexec_b64 s[60:61], vcc
	s_cbranch_execz .LBB6_73
; %bb.70:                               ;   in Loop: Header=BB6_49 Depth=1
	v_mad_u64_u32 v[35:36], s[20:21], v3, 24, v[46:47]
                                        ; implicit-def: $vgpr8_vgpr9
	v_mov_b32_e32 v1, v36
	v_mad_u64_u32 v[4:5], s[20:21], v27, 24, v[1:2]
	v_mov_b32_e32 v36, v4
	flat_load_dword v1, v[35:36]
	s_waitcnt vmcnt(0) lgkmcnt(0)
	v_cmp_ne_u32_e32 vcc, 1, v1
	v_cmp_eq_u32_e64 s[20:21], 1, v1
	s_and_saveexec_b64 s[62:63], s[20:21]
	s_cbranch_execz .LBB6_72
; %bb.71:                               ;   in Loop: Header=BB6_49 Depth=1
	flat_load_dword v4, v[35:36] offset:4 glc
	s_waitcnt vmcnt(0) lgkmcnt(0)
	v_ashrrev_i32_e32 v5, 31, v4
	v_lshrrev_b64 v[8:9], 1, v[4:5]
.LBB6_72:                               ;   in Loop: Header=BB6_49 Depth=1
	s_or_b64 exec, exec, s[62:63]
	s_orn2_b64 s[20:21], vcc, exec
.LBB6_73:                               ;   in Loop: Header=BB6_49 Depth=1
	s_or_b64 exec, exec, s[60:61]
	s_and_saveexec_b64 s[60:61], s[20:21]
	s_cbranch_execz .LBB6_75
; %bb.74:                               ;   in Loop: Header=BB6_49 Depth=1
	v_mul_lo_u32 v1, v27, v59
	v_mul_lo_u32 v4, v3, v45
	v_mad_u64_u32 v[8:9], s[20:21], v3, v59, 0
	v_add3_u32 v9, v9, v4, v1
.LBB6_75:                               ;   in Loop: Header=BB6_49 Depth=1
	s_or_b64 exec, exec, s[60:61]
	v_cmp_eq_u32_e32 vcc, 0, v2
	v_lshlrev_b64 v[1:2], 1, v[8:9]
	v_cndmask_b32_e32 v3, v30, v52, vcc
	s_waitcnt vmcnt(0)
	v_add_co_u32_e32 v1, vcc, v10, v1
	v_addc_co_u32_e32 v2, vcc, v11, v2, vcc
	v_add_u32_e32 v3, v0, v3
	ds_write_b64 v3, v[1:2] offset:584
	v_and_b32_e32 v1, 0x2000, v54
	v_cmp_ne_u32_e32 vcc, 0, v1
	s_and_saveexec_b64 s[20:21], vcc
	s_cbranch_execz .LBB6_77
; %bb.76:                               ;   in Loop: Header=BB6_49 Depth=1
	ds_read_b64 v[1:2], v0 offset:872
	s_waitcnt lgkmcnt(0)
	v_add_co_u32_e32 v1, vcc, 1, v1
	v_addc_co_u32_e32 v2, vcc, 0, v2, vcc
	ds_write_b64 v0, v[1:2] offset:872
.LBB6_77:                               ;   in Loop: Header=BB6_49 Depth=1
	s_or_b64 exec, exec, s[20:21]
	v_mov_b32_e32 v49, v34
	v_mov_b32_e32 v48, v33
.LBB6_78:                               ;   in Loop: Header=BB6_49 Depth=1
	s_or_b64 exec, exec, s[58:59]
	s_and_saveexec_b64 s[20:21], s[10:11]
	s_cbranch_execz .LBB6_97
; %bb.79:                               ;   in Loop: Header=BB6_49 Depth=1
	s_and_saveexec_b64 s[58:59], s[40:41]
	s_xor_b64 s[58:59], exec, s[58:59]
	s_cbranch_execz .LBB6_94
; %bb.80:                               ;   in Loop: Header=BB6_49 Depth=1
	s_and_saveexec_b64 s[60:61], s[12:13]
	s_cbranch_execz .LBB6_93
; %bb.81:                               ;   in Loop: Header=BB6_49 Depth=1
	s_mov_b64 s[72:73], exec
	v_mbcnt_lo_u32_b32 v1, s72, 0
	v_mbcnt_hi_u32_b32 v1, s73, v1
	v_cmp_eq_u32_e32 vcc, 0, v1
	s_waitcnt vmcnt(0) lgkmcnt(0)
	buffer_wbinvl1_vol
	s_and_saveexec_b64 s[62:63], vcc
	s_cbranch_execz .LBB6_83
; %bb.82:                               ;   in Loop: Header=BB6_49 Depth=1
	s_bcnt1_i32_b64 s72, s[72:73]
	v_mov_b32_e32 v1, s72
	v_mov_b32_e32 v2, v24
	ds_add_u64 v0, v[1:2]
	s_trap 2
.LBB6_83:                               ;   in Loop: Header=BB6_49 Depth=1
	s_or_b64 exec, exec, s[62:63]
	s_trap 2
	ds_read_b64 v[1:2], v0
	s_waitcnt lgkmcnt(0)
	v_add_co_u32_e32 v20, vcc, v20, v39
	v_addc_co_u32_e32 v21, vcc, 0, v21, vcc
	v_cmp_lt_u64_e32 vcc, v[1:2], v[20:21]
	s_and_saveexec_b64 s[62:63], vcc
	s_cbranch_execz .LBB6_92
; %bb.84:                               ;   in Loop: Header=BB6_49 Depth=1
	s_mov_b32 s92, 0
	s_mov_b64 s[72:73], 0
                                        ; implicit-def: $sgpr74_sgpr75
                                        ; implicit-def: $sgpr76_sgpr77
	s_branch .LBB6_86
.LBB6_85:                               ;   in Loop: Header=BB6_86 Depth=2
	s_or_b64 exec, exec, s[88:89]
	s_and_b64 s[78:79], exec, s[90:91]
	s_or_b64 s[72:73], s[78:79], s[72:73]
	s_andn2_b64 s[74:75], s[74:75], exec
	s_and_b64 s[78:79], s[76:77], exec
	s_or_b64 s[74:75], s[74:75], s[78:79]
	s_andn2_b64 exec, exec, s[72:73]
	s_cbranch_execz .LBB6_90
.LBB6_86:                               ;   Parent Loop BB6_49 Depth=1
                                        ; =>  This Inner Loop Header: Depth=2
	s_add_i32 s92, s92, 1
	s_cmpk_lg_i32 s92, 0x2710
	s_cselect_b64 s[78:79], -1, 0
	s_and_b64 vcc, exec, s[78:79]
	s_cbranch_vccz .LBB6_88
; %bb.87:                               ;   in Loop: Header=BB6_86 Depth=2
	s_mov_b64 s[90:91], -1
	s_or_b64 s[76:77], s[76:77], exec
	s_and_saveexec_b64 s[88:89], s[78:79]
	s_cbranch_execz .LBB6_85
	s_branch .LBB6_89
.LBB6_88:                               ;   in Loop: Header=BB6_86 Depth=2
	s_trap 2
	ds_read_b64 v[1:2], v0
	s_andn2_b64 s[78:79], s[78:79], exec
	s_mov_b32 s92, 0
	s_waitcnt lgkmcnt(0)
	flat_load_dword v1, v[1:2] glc
	s_waitcnt vmcnt(0) lgkmcnt(0)
	buffer_wbinvl1_vol
	v_cmp_eq_u32_e32 vcc, 0, v1
	s_and_b64 s[88:89], vcc, exec
	s_or_b64 s[78:79], s[78:79], s[88:89]
	s_mov_b64 s[90:91], -1
	s_or_b64 s[76:77], s[76:77], exec
	s_and_saveexec_b64 s[88:89], s[78:79]
	s_cbranch_execz .LBB6_85
.LBB6_89:                               ;   in Loop: Header=BB6_86 Depth=2
	s_sleep 1
	s_trap 2
	ds_read_b64 v[1:2], v0
	s_waitcnt lgkmcnt(0)
	s_andn2_b64 s[76:77], s[76:77], exec
	v_cmp_ge_u64_e32 vcc, v[1:2], v[20:21]
	s_orn2_b64 s[90:91], vcc, exec
	s_branch .LBB6_85
.LBB6_90:                               ;   in Loop: Header=BB6_49 Depth=1
	s_or_b64 exec, exec, s[72:73]
	s_and_saveexec_b64 s[72:73], s[74:75]
	s_xor_b64 s[72:73], exec, s[72:73]
	s_cbranch_execz .LBB6_92
; %bb.91:                               ;   in Loop: Header=BB6_49 Depth=1
	ds_write_b32 v0, v26
	s_trap 2
.LBB6_92:                               ;   in Loop: Header=BB6_49 Depth=1
	s_or_b64 exec, exec, s[62:63]
	;;#ASMSTART
	s_wakeup
	;;#ASMEND
.LBB6_93:                               ;   in Loop: Header=BB6_49 Depth=1
	s_or_b64 exec, exec, s[60:61]
.LBB6_94:                               ;   in Loop: Header=BB6_49 Depth=1
	s_andn2_saveexec_b64 s[58:59], s[58:59]
	s_cbranch_execz .LBB6_96
; %bb.95:                               ;   in Loop: Header=BB6_49 Depth=1
	s_waitcnt vmcnt(0) lgkmcnt(0)
	buffer_wbinvl1_vol
	s_barrier
.LBB6_96:                               ;   in Loop: Header=BB6_49 Depth=1
	s_or_b64 exec, exec, s[58:59]
.LBB6_97:                               ;   in Loop: Header=BB6_49 Depth=1
	s_or_b64 exec, exec, s[20:21]
	s_trap 2
	ds_read_b32 v2, v0
	v_and_b32_e32 v1, 0x4000, v54
	v_cmp_ne_u32_e32 vcc, 0, v1
	s_and_b64 s[58:59], s[44:45], vcc
	s_and_saveexec_b64 s[20:21], s[58:59]
	s_cbranch_execz .LBB6_116
; %bb.98:                               ;   in Loop: Header=BB6_49 Depth=1
	s_and_saveexec_b64 s[58:59], s[40:41]
	s_xor_b64 s[58:59], exec, s[58:59]
	s_cbranch_execz .LBB6_113
; %bb.99:                               ;   in Loop: Header=BB6_49 Depth=1
	s_and_saveexec_b64 s[60:61], s[12:13]
	s_cbranch_execz .LBB6_112
; %bb.100:                              ;   in Loop: Header=BB6_49 Depth=1
	s_mov_b64 s[72:73], exec
	v_mbcnt_lo_u32_b32 v1, s72, 0
	v_mbcnt_hi_u32_b32 v1, s73, v1
	v_cmp_eq_u32_e32 vcc, 0, v1
	s_waitcnt vmcnt(0) lgkmcnt(0)
	buffer_wbinvl1_vol
	s_and_saveexec_b64 s[62:63], vcc
	s_cbranch_execz .LBB6_102
; %bb.101:                              ;   in Loop: Header=BB6_49 Depth=1
	s_bcnt1_i32_b64 s72, s[72:73]
	v_mov_b32_e32 v3, s72
	v_mov_b32_e32 v4, v24
	ds_add_u64 v0, v[3:4]
	s_trap 2
.LBB6_102:                              ;   in Loop: Header=BB6_49 Depth=1
	s_or_b64 exec, exec, s[62:63]
	s_trap 2
	ds_read_b64 v[3:4], v0
	s_waitcnt lgkmcnt(0)
	v_add_co_u32_e32 v20, vcc, v20, v39
	v_addc_co_u32_e32 v21, vcc, 0, v21, vcc
	v_cmp_lt_u64_e32 vcc, v[3:4], v[20:21]
	s_and_saveexec_b64 s[62:63], vcc
	s_cbranch_execz .LBB6_111
; %bb.103:                              ;   in Loop: Header=BB6_49 Depth=1
	s_mov_b32 s92, 0
	s_mov_b64 s[72:73], 0
                                        ; implicit-def: $sgpr74_sgpr75
                                        ; implicit-def: $sgpr76_sgpr77
	s_branch .LBB6_105
.LBB6_104:                              ;   in Loop: Header=BB6_105 Depth=2
	s_or_b64 exec, exec, s[88:89]
	s_and_b64 s[78:79], exec, s[90:91]
	s_or_b64 s[72:73], s[78:79], s[72:73]
	s_andn2_b64 s[74:75], s[74:75], exec
	s_and_b64 s[78:79], s[76:77], exec
	s_or_b64 s[74:75], s[74:75], s[78:79]
	s_andn2_b64 exec, exec, s[72:73]
	s_cbranch_execz .LBB6_109
.LBB6_105:                              ;   Parent Loop BB6_49 Depth=1
                                        ; =>  This Inner Loop Header: Depth=2
	s_add_i32 s92, s92, 1
	s_cmpk_lg_i32 s92, 0x2710
	s_cselect_b64 s[78:79], -1, 0
	s_and_b64 vcc, exec, s[78:79]
	s_cbranch_vccz .LBB6_107
; %bb.106:                              ;   in Loop: Header=BB6_105 Depth=2
	s_mov_b64 s[90:91], -1
	s_or_b64 s[76:77], s[76:77], exec
	s_and_saveexec_b64 s[88:89], s[78:79]
	s_cbranch_execz .LBB6_104
	s_branch .LBB6_108
.LBB6_107:                              ;   in Loop: Header=BB6_105 Depth=2
	s_trap 2
	ds_read_b64 v[3:4], v0
	s_andn2_b64 s[78:79], s[78:79], exec
	s_mov_b32 s92, 0
	s_waitcnt lgkmcnt(0)
	flat_load_dword v1, v[3:4] glc
	s_waitcnt vmcnt(0) lgkmcnt(0)
	buffer_wbinvl1_vol
	v_cmp_eq_u32_e32 vcc, 0, v1
	s_and_b64 s[88:89], vcc, exec
	s_or_b64 s[78:79], s[78:79], s[88:89]
	s_mov_b64 s[90:91], -1
	s_or_b64 s[76:77], s[76:77], exec
	s_and_saveexec_b64 s[88:89], s[78:79]
	s_cbranch_execz .LBB6_104
.LBB6_108:                              ;   in Loop: Header=BB6_105 Depth=2
	s_sleep 1
	s_trap 2
	ds_read_b64 v[3:4], v0
	s_waitcnt lgkmcnt(0)
	s_andn2_b64 s[76:77], s[76:77], exec
	v_cmp_ge_u64_e32 vcc, v[3:4], v[20:21]
	s_orn2_b64 s[90:91], vcc, exec
	s_branch .LBB6_104
.LBB6_109:                              ;   in Loop: Header=BB6_49 Depth=1
	s_or_b64 exec, exec, s[72:73]
	s_and_saveexec_b64 s[72:73], s[74:75]
	s_xor_b64 s[72:73], exec, s[72:73]
	s_cbranch_execz .LBB6_111
; %bb.110:                              ;   in Loop: Header=BB6_49 Depth=1
	ds_write_b32 v0, v26
	s_trap 2
.LBB6_111:                              ;   in Loop: Header=BB6_49 Depth=1
	s_or_b64 exec, exec, s[62:63]
	;;#ASMSTART
	s_wakeup
	;;#ASMEND
.LBB6_112:                              ;   in Loop: Header=BB6_49 Depth=1
	s_or_b64 exec, exec, s[60:61]
.LBB6_113:                              ;   in Loop: Header=BB6_49 Depth=1
	s_andn2_saveexec_b64 s[58:59], s[58:59]
	s_cbranch_execz .LBB6_115
; %bb.114:                              ;   in Loop: Header=BB6_49 Depth=1
	s_waitcnt vmcnt(0) lgkmcnt(0)
	buffer_wbinvl1_vol
	s_barrier
.LBB6_115:                              ;   in Loop: Header=BB6_49 Depth=1
	s_or_b64 exec, exec, s[58:59]
.LBB6_116:                              ;   in Loop: Header=BB6_49 Depth=1
	s_or_b64 exec, exec, s[20:21]
	s_trap 2
	ds_read_b64 v[16:17], v0
	s_waitcnt lgkmcnt(0)
	v_cmp_eq_u64_e32 vcc, 0, v[16:17]
	s_cbranch_vccnz .LBB6_124
; %bb.117:                              ;   in Loop: Header=BB6_49 Depth=1
	s_trap 2
	ds_read_b64 v[35:36], v0
	s_waitcnt lgkmcnt(0)
	v_cmp_eq_u64_e32 vcc, 0, v[35:36]
	s_cbranch_vccnz .LBB6_124
; %bb.118:                              ;   in Loop: Header=BB6_49 Depth=1
	s_mov_b64 s[20:21], -1
	s_and_saveexec_b64 s[58:59], s[14:15]
	s_cbranch_execz .LBB6_120
; %bb.119:                              ;   in Loop: Header=BB6_49 Depth=1
	ds_read_b32 v1, v0 offset:720
	s_waitcnt lgkmcnt(0)
	v_and_b32_e32 v1, 15, v1
	v_cmp_eq_u32_e32 vcc, 0, v1
	s_orn2_b64 s[20:21], vcc, exec
.LBB6_120:                              ;   in Loop: Header=BB6_49 Depth=1
	s_or_b64 exec, exec, s[58:59]
	s_and_saveexec_b64 s[58:59], s[16:17]
	s_cbranch_execz .LBB6_122
; %bb.121:                              ;   in Loop: Header=BB6_49 Depth=1
	ds_read_b32 v1, v0 offset:784
	s_waitcnt lgkmcnt(0)
	v_and_b32_e32 v1, 15, v1
	v_cmp_eq_u32_e32 vcc, 0, v1
	s_and_b64 s[60:61], s[20:21], vcc
	s_andn2_b64 s[20:21], s[20:21], exec
	s_and_b64 s[60:61], s[60:61], exec
	s_or_b64 s[20:21], s[20:21], s[60:61]
.LBB6_122:                              ;   in Loop: Header=BB6_49 Depth=1
	s_or_b64 exec, exec, s[58:59]
	v_cmp_eq_u32_e32 vcc, 0, v2
	s_xor_b64 s[20:21], s[20:21], -1
	v_cndmask_b32_e32 v8, 0, v58, vcc
	v_cndmask_b32_e64 v2, 0, 1, s[20:21]
	v_lshlrev_b32_e32 v1, 1, v8
	s_mov_b64 s[60:61], -1
	v_cmp_ne_u32_e32 vcc, 0, v2
	v_mov_b32_e32 v60, 0
	s_cbranch_vccz .LBB6_125
; %bb.123:                              ;   in Loop: Header=BB6_49 Depth=1
	v_mov_b32_e32 v61, v40
	v_mov_b32_e32 v37, v56
	s_and_saveexec_b64 s[20:21], s[60:61]
	s_cbranch_execnz .LBB6_138
	s_branch .LBB6_146
.LBB6_124:                              ;   in Loop: Header=BB6_49 Depth=1
	s_mov_b64 s[20:21], 0
	s_and_saveexec_b64 s[58:59], s[10:11]
	s_cbranch_execnz .LBB6_147
	s_branch .LBB6_165
.LBB6_125:                              ;   in Loop: Header=BB6_49 Depth=1
	v_lshrrev_b32_e32 v3, 11, v8
	v_sub_u32_e32 v2, v3, v56
	v_cmp_lt_i32_e32 vcc, 0, v2
	s_and_saveexec_b64 s[20:21], vcc
	s_cbranch_execz .LBB6_129
; %bb.126:                              ;   in Loop: Header=BB6_49 Depth=1
	buffer_store_dword v8, off, s[0:3], s33 offset:160 ; 4-byte Folded Spill
	buffer_store_dword v24, off, s[0:3], s33 offset:152 ; 4-byte Folded Spill
	s_nop 0
	buffer_store_dword v25, off, s[0:3], s33 offset:156 ; 4-byte Folded Spill
	buffer_store_dword v46, off, s[0:3], s33 offset:60 ; 4-byte Folded Spill
	s_nop 0
	buffer_store_dword v47, off, s[0:3], s33 offset:64 ; 4-byte Folded Spill
	buffer_store_dword v48, off, s[0:3], s33 offset:68 ; 4-byte Folded Spill
	;; [unrolled: 1-line block ×3, first 2 shown]
	s_trap 2
	buffer_load_dword v6, off, s[0:3], s33 offset:196 ; 4-byte Folded Reload
	buffer_load_dword v7, off, s[0:3], s33 offset:200 ; 4-byte Folded Reload
	ds_read_b64 v[4:5], v0
	s_mov_b64 s[58:59], 0
	s_waitcnt vmcnt(0)
	v_add_co_u32_e32 v37, vcc, v16, v6
	s_waitcnt vmcnt(0)
	v_addc_co_u32_e32 v38, vcc, v17, v7, vcc
	s_waitcnt lgkmcnt(0)
	v_add_co_u32_e32 v48, vcc, v4, v6
	v_addc_co_u32_e32 v49, vcc, v5, v7, vcc
	v_add_co_u32_e32 v50, vcc, v35, v6
	buffer_store_dword v35, off, s[0:3], s33 offset:164 ; 4-byte Folded Spill
	s_nop 0
	buffer_store_dword v36, off, s[0:3], s33 offset:168 ; 4-byte Folded Spill
	v_addc_co_u32_e32 v51, vcc, v36, v7, vcc
.LBB6_127:                              ;   Parent Loop BB6_49 Depth=1
                                        ; =>  This Inner Loop Header: Depth=2
	global_load_dwordx4 v[4:7], v[48:49], off glc slc
	global_load_dwordx4 v[8:11], v[37:38], off glc slc
	global_load_dwordx4 v[12:15], v[37:38], off offset:1024 glc slc
	global_load_dwordx4 v[24:27], v[48:49], off offset:1024 glc slc
	;; [unrolled: 1-line block ×6, first 2 shown]
	v_add_co_u32_e32 v37, vcc, v37, v53
	v_addc_co_u32_e32 v38, vcc, 0, v38, vcc
	v_add_co_u32_e32 v48, vcc, v48, v53
	v_addc_co_u32_e32 v49, vcc, 0, v49, vcc
	v_sub_u32_e32 v2, v2, v39
	v_cmp_gt_i32_e32 vcc, 1, v2
	s_or_b64 s[58:59], vcc, s[58:59]
	s_waitcnt vmcnt(6)
	v_add_f16_e32 v30, v8, v4
	v_add_f16_sdwa v4, v8, v4 dst_sel:WORD_1 dst_unused:UNUSED_PAD src0_sel:WORD_1 src1_sel:WORD_1
	v_add_f16_e32 v8, v9, v5
	v_add_f16_sdwa v5, v9, v5 dst_sel:WORD_1 dst_unused:UNUSED_PAD src0_sel:WORD_1 src1_sel:WORD_1
	v_add_f16_e32 v9, v10, v6
	v_add_f16_sdwa v6, v10, v6 dst_sel:WORD_1 dst_unused:UNUSED_PAD src0_sel:WORD_1 src1_sel:WORD_1
	v_add_f16_e32 v10, v11, v7
	v_add_f16_sdwa v7, v11, v7 dst_sel:WORD_1 dst_unused:UNUSED_PAD src0_sel:WORD_1 src1_sel:WORD_1
	s_waitcnt vmcnt(4)
	v_add_f16_e32 v11, v12, v24
	v_add_f16_sdwa v12, v12, v24 dst_sel:WORD_1 dst_unused:UNUSED_PAD src0_sel:WORD_1 src1_sel:WORD_1
	v_add_f16_e32 v24, v13, v25
	v_add_f16_sdwa v13, v13, v25 dst_sel:WORD_1 dst_unused:UNUSED_PAD src0_sel:WORD_1 src1_sel:WORD_1
	v_add_f16_e32 v25, v14, v26
	v_add_f16_sdwa v14, v14, v26 dst_sel:WORD_1 dst_unused:UNUSED_PAD src0_sel:WORD_1 src1_sel:WORD_1
	v_add_f16_e32 v26, v15, v27
	v_add_f16_sdwa v15, v15, v27 dst_sel:WORD_1 dst_unused:UNUSED_PAD src0_sel:WORD_1 src1_sel:WORD_1
	;; [unrolled: 9-line block ×4, first 2 shown]
	v_or_b32_e32 v5, v5, v8
	v_or_b32_e32 v4, v4, v30
	v_or_b32_e32 v7, v7, v10
	v_or_b32_e32 v6, v6, v9
	v_or_b32_e32 v9, v13, v24
	v_or_b32_e32 v8, v12, v11
	v_or_b32_e32 v11, v15, v26
	v_or_b32_e32 v10, v14, v25
	v_or_b32_e32 v13, v55, v52
	v_or_b32_e32 v12, v31, v27
	v_or_b32_e32 v15, v43, v42
	v_or_b32_e32 v14, v41, v40
	v_or_b32_e32 v25, v34, v44
	v_or_b32_e32 v24, v33, v56
	v_or_b32_e32 v27, v36, v46
	v_or_b32_e32 v26, v35, v45
	global_store_dwordx4 v[50:51], v[4:7], off glc slc
	global_store_dwordx4 v[50:51], v[8:11], off offset:1024 glc slc
	global_store_dwordx4 v[50:51], v[12:15], off offset:2048 glc slc
	;; [unrolled: 1-line block ×3, first 2 shown]
	v_add_co_u32_e32 v50, vcc, v50, v53
	v_addc_co_u32_e32 v51, vcc, 0, v51, vcc
	s_andn2_b64 exec, exec, s[58:59]
	s_cbranch_execnz .LBB6_127
; %bb.128:                              ;   in Loop: Header=BB6_49 Depth=1
	s_or_b64 exec, exec, s[58:59]
	buffer_load_dword v14, off, s[0:3], s33 offset:132 ; 4-byte Folded Reload
	buffer_load_dword v31, off, s[0:3], s33 offset:136 ; 4-byte Folded Reload
	;; [unrolled: 1-line block ×30, first 2 shown]
	v_lshlrev_b32_e32 v62, 10, v39
	v_mov_b32_e32 v26, 1
	v_mov_b32_e32 v30, 0xc8
	;; [unrolled: 1-line block ×3, first 2 shown]
.LBB6_129:                              ;   in Loop: Header=BB6_49 Depth=1
	s_or_b64 exec, exec, s[20:21]
	v_lshlrev_b32_e32 v3, 12, v3
	v_cmp_ne_u32_e32 vcc, v1, v3
	s_mov_b64 s[60:61], 0
	v_mov_b32_e32 v60, 0
                                        ; implicit-def: $vgpr61
                                        ; implicit-def: $vgpr37
	s_and_saveexec_b64 s[58:59], vcc
	s_cbranch_execz .LBB6_137
; %bb.130:                              ;   in Loop: Header=BB6_49 Depth=1
	buffer_load_dword v5, off, s[0:3], s33 offset:192 ; 4-byte Folded Reload
	v_lshlrev_b32_e32 v2, 6, v2
	v_sub_u32_e32 v4, v1, v3
	s_waitcnt vmcnt(0)
	v_mov_b32_e32 v33, v24
	s_waitcnt vmcnt(0)
	v_sub_u32_e32 v2, v5, v2
	v_ashrrev_i32_e32 v5, 31, v2
	v_lshrrev_b32_e32 v5, 26, v5
	v_add_u32_e32 v5, v2, v5
	v_ashrrev_i32_e32 v6, 6, v5
	v_and_b32_e32 v5, 0xffffffc0, v5
	v_sub_u32_e32 v2, v2, v5
	v_lshlrev_b32_e32 v5, 4, v2
	v_lshl_add_u32 v37, v6, 10, v5
	v_ashrrev_i32_e32 v5, 31, v4
	v_lshrrev_b32_e32 v5, 22, v5
	v_add_u32_e32 v5, v4, v5
	v_and_b32_e32 v30, 0xfffffc00, v5
	v_sub_u32_e32 v52, v4, v30
	v_ashrrev_i32_e32 v7, 10, v5
	v_cmp_lt_i32_e32 vcc, 15, v52
	v_sub_u32_e32 v55, v4, v37
	v_addc_co_u32_e64 v4, s[20:21], 0, v7, vcc
	v_sub_u32_e32 v13, v4, v6
	v_cmp_lt_i32_e64 s[20:21], 15, v55
	s_and_saveexec_b64 s[60:61], s[20:21]
	s_cbranch_execz .LBB6_134
; %bb.131:                              ;   in Loop: Header=BB6_49 Depth=1
	s_trap 2
	ds_read_b64 v[4:5], v0
	v_add_u32_e32 v6, v37, v3
	v_ashrrev_i32_e32 v7, 31, v6
	v_add_co_u32_e64 v37, s[20:21], v6, v16
	v_mov_b32_e32 v24, v46
	v_addc_co_u32_e64 v38, s[20:21], v7, v17, s[20:21]
	v_mov_b32_e32 v25, v47
	v_mov_b32_e32 v26, v48
	;; [unrolled: 1-line block ×3, first 2 shown]
	s_waitcnt lgkmcnt(0)
	v_add_co_u32_e64 v48, s[20:21], v4, v6
	v_addc_co_u32_e64 v49, s[20:21], v5, v7, s[20:21]
	v_add_co_u32_e64 v50, s[20:21], v6, v35
	v_mov_b32_e32 v34, v8
	v_addc_co_u32_e64 v51, s[20:21], v7, v36, s[20:21]
	s_mov_b64 s[62:63], 0
.LBB6_132:                              ;   Parent Loop BB6_49 Depth=1
                                        ; =>  This Inner Loop Header: Depth=2
	global_load_dwordx4 v[4:7], v[37:38], off glc slc
	global_load_dwordx4 v[8:11], v[48:49], off glc slc
	v_add_co_u32_e64 v37, s[20:21], v37, v62
	v_addc_co_u32_e64 v38, s[20:21], 0, v38, s[20:21]
	v_add_co_u32_e64 v48, s[20:21], v48, v62
	v_addc_co_u32_e64 v49, s[20:21], 0, v49, s[20:21]
	v_sub_u32_e32 v55, v55, v62
	v_cmp_gt_i32_e64 s[20:21], 16, v55
	s_or_b64 s[62:63], s[20:21], s[62:63]
	v_sub_u32_e32 v13, v13, v39
	s_waitcnt vmcnt(0)
	v_add_f16_e32 v12, v4, v8
	v_add_f16_sdwa v4, v4, v8 dst_sel:WORD_1 dst_unused:UNUSED_PAD src0_sel:WORD_1 src1_sel:WORD_1
	v_add_f16_e32 v8, v5, v9
	v_add_f16_sdwa v5, v5, v9 dst_sel:WORD_1 dst_unused:UNUSED_PAD src0_sel:WORD_1 src1_sel:WORD_1
	v_add_f16_e32 v9, v6, v10
	v_add_f16_sdwa v6, v6, v10 dst_sel:WORD_1 dst_unused:UNUSED_PAD src0_sel:WORD_1 src1_sel:WORD_1
	v_add_f16_e32 v10, v7, v11
	v_add_f16_sdwa v7, v7, v11 dst_sel:WORD_1 dst_unused:UNUSED_PAD src0_sel:WORD_1 src1_sel:WORD_1
	v_or_b32_e32 v5, v5, v8
	v_or_b32_e32 v4, v4, v12
	;; [unrolled: 1-line block ×4, first 2 shown]
	global_store_dwordx4 v[50:51], v[4:7], off glc slc
	v_add_co_u32_e64 v50, s[20:21], v50, v62
	v_addc_co_u32_e64 v51, s[20:21], 0, v51, s[20:21]
	s_andn2_b64 exec, exec, s[62:63]
	s_cbranch_execnz .LBB6_132
; %bb.133:                              ;   in Loop: Header=BB6_49 Depth=1
	s_or_b64 exec, exec, s[62:63]
	buffer_load_dword v50, off, s[0:3], s33 offset:120 ; 4-byte Folded Reload
	buffer_load_dword v51, off, s[0:3], s33 offset:124 ; 4-byte Folded Reload
	;; [unrolled: 1-line block ×4, first 2 shown]
	v_mov_b32_e32 v49, v27
	v_mov_b32_e32 v48, v26
	;; [unrolled: 1-line block ×5, first 2 shown]
.LBB6_134:                              ;   in Loop: Header=BB6_49 Depth=1
	s_or_b64 exec, exec, s[60:61]
	v_and_b32_e32 v38, 14, v1
	v_cndmask_b32_e32 v1, v52, v38, vcc
	v_mov_b32_e32 v60, 0
	s_mov_b64 s[60:61], 0
	v_cmp_ne_u32_e64 s[20:21], 0, v1
                                        ; implicit-def: $vgpr61
                                        ; implicit-def: $vgpr37
	s_mov_b64 s[62:63], exec
	buffer_load_dword v6, off, s[0:3], s33 offset:84 ; 4-byte Folded Reload
	buffer_load_dword v7, off, s[0:3], s33 offset:88 ; 4-byte Folded Reload
	s_and_b64 s[20:21], s[62:63], s[20:21]
	v_mov_b32_e32 v24, v33
	s_mov_b64 exec, s[20:21]
	s_cbranch_execz .LBB6_136
; %bb.135:                              ;   in Loop: Header=BB6_49 Depth=1
	v_sub_u32_e32 v4, v52, v38
	v_cndmask_b32_e32 v4, 0, v4, vcc
	v_cmp_lt_i32_e32 vcc, 0, v13
	v_add3_u32 v60, v30, v3, v4
	v_cndmask_b32_e32 v3, 0, v39, vcc
	v_sub_u32_e32 v3, v3, v13
	v_lshl_add_u32 v61, v3, 6, v2
	v_ashrrev_i32_e32 v2, 31, v61
	v_lshrrev_b32_e32 v2, 26, v2
	v_add_u32_e32 v2, v61, v2
	s_mov_b64 s[60:61], exec
	v_ashrrev_i32_e32 v37, 6, v2
.LBB6_136:                              ;   in Loop: Header=BB6_49 Depth=1
	s_or_b64 exec, exec, s[62:63]
	buffer_load_dword v12, off, s[0:3], s33 offset:92 ; 4-byte Folded Reload
	buffer_load_dword v13, off, s[0:3], s33 offset:96 ; 4-byte Folded Reload
	s_and_b64 s[60:61], s[60:61], exec
	v_mov_b32_e32 v26, 1
	v_mov_b32_e32 v30, 0xc8
	;; [unrolled: 1-line block ×3, first 2 shown]
.LBB6_137:                              ;   in Loop: Header=BB6_49 Depth=1
	s_or_b64 exec, exec, s[58:59]
	s_and_saveexec_b64 s[20:21], s[60:61]
	s_cbranch_execz .LBB6_146
.LBB6_138:                              ;   in Loop: Header=BB6_49 Depth=1
	v_ashrrev_i32_e32 v2, 31, v1
	v_lshrrev_b32_e32 v2, 21, v2
	v_add_u32_e32 v2, v1, v2
	v_ashrrev_i32_e32 v2, 11, v2
	v_sub_u32_e32 v62, v2, v37
	v_ashrrev_i32_e32 v3, 31, v61
	v_cmp_lt_i32_e32 vcc, 0, v62
	v_lshrrev_b32_e32 v3, 26, v3
	s_and_saveexec_b64 s[58:59], vcc
	s_cbranch_execz .LBB6_142
; %bb.139:                              ;   in Loop: Header=BB6_49 Depth=1
	s_waitcnt vmcnt(0)
	buffer_store_dword v8, off, s[0:3], s33 offset:160 ; 4-byte Folded Spill
	buffer_store_dword v24, off, s[0:3], s33 offset:152 ; 4-byte Folded Spill
	s_nop 0
	buffer_store_dword v25, off, s[0:3], s33 offset:156 ; 4-byte Folded Spill
	buffer_store_dword v46, off, s[0:3], s33 offset:60 ; 4-byte Folded Spill
	s_nop 0
	buffer_store_dword v47, off, s[0:3], s33 offset:64 ; 4-byte Folded Spill
	buffer_store_dword v48, off, s[0:3], s33 offset:68 ; 4-byte Folded Spill
	;; [unrolled: 1-line block ×4, first 2 shown]
	v_add_u32_e32 v3, v61, v3
	v_and_b32_e32 v3, 0x7fffffc0, v3
	v_sub_u32_e32 v3, v61, v3
	v_lshlrev_b32_e32 v3, 1, v3
	v_lshlrev_b32_e32 v4, 11, v37
	v_add3_u32 v5, v3, v60, v4
	s_trap 2
	ds_read_b64 v[3:4], v0
	v_ashrrev_i32_e32 v6, 31, v5
	v_add_co_u32_e32 v37, vcc, v5, v16
	v_addc_co_u32_e32 v38, vcc, v6, v17, vcc
	s_waitcnt lgkmcnt(0)
	v_add_co_u32_e32 v48, vcc, v3, v5
	v_addc_co_u32_e32 v49, vcc, v4, v6, vcc
	s_waitcnt vmcnt(9)
	v_add_co_u32_e32 v3, vcc, 0x780, v35
	buffer_store_dword v35, off, s[0:3], s33 offset:164 ; 4-byte Folded Spill
	s_waitcnt vmcnt(9)
	buffer_store_dword v36, off, s[0:3], s33 offset:168 ; 4-byte Folded Spill
	s_mov_b64 s[60:61], 0
	v_addc_co_u32_e32 v4, vcc, 0, v36, vcc
	v_add_co_u32_e32 v50, vcc, v3, v5
	v_addc_co_u32_e32 v51, vcc, v4, v6, vcc
.LBB6_140:                              ;   Parent Loop BB6_49 Depth=1
                                        ; =>  This Inner Loop Header: Depth=2
	flat_load_ushort v3, v[37:38] glc slc
	flat_load_ushort v4, v[37:38] offset:128 glc slc
	flat_load_ushort v5, v[37:38] offset:256 glc slc
	;; [unrolled: 1-line block ×15, first 2 shown]
	flat_load_ushort v27, v[48:49] glc slc
	flat_load_ushort v30, v[48:49] offset:128 glc slc
	flat_load_ushort v31, v[48:49] offset:256 glc slc
	;; [unrolled: 1-line block ×15, first 2 shown]
	v_sub_u32_e32 v62, v62, v39
	s_waitcnt vmcnt(0) lgkmcnt(0)
	v_add_f16_e32 v27, v3, v27
	v_add_f16_e32 v59, v4, v30
	v_add_co_u32_e32 v4, vcc, s36, v50
	v_add_f16_e32 v42, v5, v31
	v_addc_co_u32_e32 v5, vcc, -1, v51, vcc
	flat_store_short v[4:5], v27 glc slc
	v_add_co_u32_e32 v4, vcc, s37, v50
	v_addc_co_u32_e32 v5, vcc, -1, v51, vcc
	flat_store_short v[4:5], v59 glc slc
	v_add_co_u32_e32 v4, vcc, s38, v50
	;; [unrolled: 3-line block ×3, first 2 shown]
	v_add_f16_e32 v6, v6, v33
	v_addc_co_u32_e32 v5, vcc, -1, v51, vcc
	flat_store_short v[4:5], v6 glc slc
	v_add_co_u32_e32 v4, vcc, s48, v50
	v_add_f16_e32 v7, v7, v34
	v_addc_co_u32_e32 v5, vcc, -1, v51, vcc
	flat_store_short v[4:5], v7 glc slc
	v_add_co_u32_e32 v4, vcc, s49, v50
	;; [unrolled: 4-line block ×11, first 2 shown]
	v_addc_co_u32_e32 v5, vcc, -1, v51, vcc
	v_add_co_u32_e32 v37, vcc, v37, v57
	v_addc_co_u32_e32 v38, vcc, 0, v38, vcc
	v_add_co_u32_e32 v48, vcc, v48, v57
	v_add_f16_e32 v3, v25, v46
	v_addc_co_u32_e32 v49, vcc, 0, v49, vcc
	v_add_f16_e32 v30, v26, v47
	flat_store_short v[4:5], v3 glc slc
	flat_store_short v[50:51], v30 glc slc
	v_add_co_u32_e32 v50, vcc, v50, v57
	v_addc_co_u32_e32 v51, vcc, 0, v51, vcc
	v_cmp_gt_i32_e32 vcc, 1, v62
	s_or_b64 s[60:61], vcc, s[60:61]
	s_andn2_b64 exec, exec, s[60:61]
	s_cbranch_execnz .LBB6_140
; %bb.141:                              ;   in Loop: Header=BB6_49 Depth=1
	s_or_b64 exec, exec, s[60:61]
	buffer_load_dword v14, off, s[0:3], s33 offset:132 ; 4-byte Folded Reload
	buffer_load_dword v31, off, s[0:3], s33 offset:136 ; 4-byte Folded Reload
	;; [unrolled: 1-line block ×31, first 2 shown]
	v_mov_b32_e32 v26, 1
	v_mov_b32_e32 v30, 0xc8
	;; [unrolled: 1-line block ×3, first 2 shown]
.LBB6_142:                              ;   in Loop: Header=BB6_49 Depth=1
	s_or_b64 exec, exec, s[58:59]
	v_lshlrev_b32_e32 v2, 11, v2
	v_cmp_ne_u32_e32 vcc, v1, v2
	s_and_b64 exec, exec, vcc
	s_cbranch_execz .LBB6_146
; %bb.143:                              ;   in Loop: Header=BB6_49 Depth=1
	s_waitcnt vmcnt(0)
	v_add_u32_e32 v3, v61, v3
	v_and_b32_e32 v3, 0xffffffc0, v3
	v_sub_u32_e32 v3, v61, v3
	v_lshlrev_b32_e32 v4, 6, v62
	v_sub_u32_e32 v3, v3, v4
	v_ashrrev_i32_e32 v4, 31, v3
	v_lshrrev_b32_e32 v4, 26, v4
	v_add_u32_e32 v4, v3, v4
	v_and_b32_e32 v5, 0x7fffffc0, v4
	v_sub_u32_e32 v3, v3, v5
	v_lshlrev_b32_e32 v4, 1, v4
	v_and_b32_e32 v4, 0xffffff80, v4
	v_lshlrev_b32_e32 v3, 1, v3
	v_add3_u32 v3, v4, v3, v2
	v_sub_u32_e32 v2, v1, v3
	v_cmp_lt_i32_e32 vcc, 1, v2
	s_and_b64 exec, exec, vcc
	s_cbranch_execz .LBB6_146
; %bb.144:                              ;   in Loop: Header=BB6_49 Depth=1
	v_add_u32_e32 v1, v3, v60
	s_trap 2
	ds_read_b64 v[3:4], v0
	v_ashrrev_i32_e32 v5, 31, v1
	v_add_co_u32_e32 v33, vcc, v1, v16
	v_addc_co_u32_e32 v34, vcc, v5, v17, vcc
	s_waitcnt lgkmcnt(0)
	v_add_co_u32_e32 v37, vcc, v3, v1
	v_addc_co_u32_e32 v38, vcc, v4, v5, vcc
	v_add_co_u32_e32 v35, vcc, v1, v35
	v_addc_co_u32_e32 v36, vcc, v5, v36, vcc
	s_mov_b64 s[58:59], 0
.LBB6_145:                              ;   Parent Loop BB6_49 Depth=1
                                        ; =>  This Inner Loop Header: Depth=2
	flat_load_ushort v1, v[33:34] glc slc
	flat_load_ushort v3, v[37:38] glc slc
	v_add_co_u32_e32 v33, vcc, v33, v0
	v_addc_co_u32_e32 v34, vcc, 0, v34, vcc
	v_add_co_u32_e32 v37, vcc, v37, v0
	v_addc_co_u32_e32 v38, vcc, 0, v38, vcc
	v_sub_u32_e32 v2, v2, v0
	v_cmp_gt_i32_e32 vcc, 2, v2
	s_or_b64 s[58:59], vcc, s[58:59]
	s_waitcnt vmcnt(0) lgkmcnt(0)
	v_add_f16_e32 v1, v1, v3
	flat_store_short v[35:36], v1 glc slc
	v_add_co_u32_e32 v35, vcc, v35, v0
	v_addc_co_u32_e32 v36, vcc, 0, v36, vcc
	s_andn2_b64 exec, exec, s[58:59]
	s_cbranch_execnz .LBB6_145
.LBB6_146:                              ;   in Loop: Header=BB6_49 Depth=1
	s_or_b64 exec, exec, s[20:21]
	s_waitcnt vmcnt(0)
	v_cmp_ne_u32_e64 s[20:21], 0, v8
	v_lshlrev_b32_e32 v62, 10, v39
	s_and_saveexec_b64 s[58:59], s[10:11]
	s_cbranch_execz .LBB6_165
.LBB6_147:                              ;   in Loop: Header=BB6_49 Depth=1
	s_and_saveexec_b64 s[60:61], s[40:41]
	s_xor_b64 s[60:61], exec, s[60:61]
	s_cbranch_execz .LBB6_162
; %bb.148:                              ;   in Loop: Header=BB6_49 Depth=1
	s_and_saveexec_b64 s[62:63], s[12:13]
	s_cbranch_execz .LBB6_161
; %bb.149:                              ;   in Loop: Header=BB6_49 Depth=1
	s_mov_b64 s[74:75], exec
	v_mbcnt_lo_u32_b32 v1, s74, 0
	v_mbcnt_hi_u32_b32 v1, s75, v1
	v_cmp_eq_u32_e32 vcc, 0, v1
	s_waitcnt vmcnt(0) lgkmcnt(0)
	buffer_wbinvl1_vol
	s_and_saveexec_b64 s[72:73], vcc
	s_cbranch_execz .LBB6_151
; %bb.150:                              ;   in Loop: Header=BB6_49 Depth=1
	s_bcnt1_i32_b64 s74, s[74:75]
	v_mov_b32_e32 v1, s74
	v_mov_b32_e32 v2, v24
	ds_add_u64 v0, v[1:2]
	s_trap 2
.LBB6_151:                              ;   in Loop: Header=BB6_49 Depth=1
	s_or_b64 exec, exec, s[72:73]
	s_trap 2
	ds_read_b64 v[1:2], v0
	s_waitcnt lgkmcnt(0)
	v_add_co_u32_e32 v20, vcc, v20, v39
	v_addc_co_u32_e32 v21, vcc, 0, v21, vcc
	v_cmp_lt_u64_e32 vcc, v[1:2], v[20:21]
	s_and_saveexec_b64 s[72:73], vcc
	s_cbranch_execz .LBB6_160
; %bb.152:                              ;   in Loop: Header=BB6_49 Depth=1
	s_mov_b32 s94, 0
	s_mov_b64 s[74:75], 0
                                        ; implicit-def: $sgpr76_sgpr77
                                        ; implicit-def: $sgpr78_sgpr79
	s_branch .LBB6_154
.LBB6_153:                              ;   in Loop: Header=BB6_154 Depth=2
	s_or_b64 exec, exec, s[90:91]
	s_and_b64 s[88:89], exec, s[92:93]
	s_or_b64 s[74:75], s[88:89], s[74:75]
	s_andn2_b64 s[76:77], s[76:77], exec
	s_and_b64 s[88:89], s[78:79], exec
	s_or_b64 s[76:77], s[76:77], s[88:89]
	s_andn2_b64 exec, exec, s[74:75]
	s_cbranch_execz .LBB6_158
.LBB6_154:                              ;   Parent Loop BB6_49 Depth=1
                                        ; =>  This Inner Loop Header: Depth=2
	s_add_i32 s94, s94, 1
	s_cmpk_lg_i32 s94, 0x2710
	s_cselect_b64 s[88:89], -1, 0
	s_and_b64 vcc, exec, s[88:89]
	s_cbranch_vccz .LBB6_156
; %bb.155:                              ;   in Loop: Header=BB6_154 Depth=2
	s_mov_b64 s[92:93], -1
	s_or_b64 s[78:79], s[78:79], exec
	s_and_saveexec_b64 s[90:91], s[88:89]
	s_cbranch_execz .LBB6_153
	s_branch .LBB6_157
.LBB6_156:                              ;   in Loop: Header=BB6_154 Depth=2
	s_trap 2
	ds_read_b64 v[1:2], v0
	s_andn2_b64 s[88:89], s[88:89], exec
	s_mov_b32 s94, 0
	s_waitcnt lgkmcnt(0)
	flat_load_dword v1, v[1:2] glc
	s_waitcnt vmcnt(0) lgkmcnt(0)
	buffer_wbinvl1_vol
	v_cmp_eq_u32_e32 vcc, 0, v1
	s_and_b64 s[90:91], vcc, exec
	s_or_b64 s[88:89], s[88:89], s[90:91]
	s_mov_b64 s[92:93], -1
	s_or_b64 s[78:79], s[78:79], exec
	s_and_saveexec_b64 s[90:91], s[88:89]
	s_cbranch_execz .LBB6_153
.LBB6_157:                              ;   in Loop: Header=BB6_154 Depth=2
	s_sleep 1
	s_trap 2
	ds_read_b64 v[1:2], v0
	s_waitcnt lgkmcnt(0)
	s_andn2_b64 s[78:79], s[78:79], exec
	v_cmp_ge_u64_e32 vcc, v[1:2], v[20:21]
	s_orn2_b64 s[92:93], vcc, exec
	s_branch .LBB6_153
.LBB6_158:                              ;   in Loop: Header=BB6_49 Depth=1
	s_or_b64 exec, exec, s[74:75]
	s_and_saveexec_b64 s[74:75], s[76:77]
	s_xor_b64 s[74:75], exec, s[74:75]
	s_cbranch_execz .LBB6_160
; %bb.159:                              ;   in Loop: Header=BB6_49 Depth=1
	ds_write_b32 v0, v26
	s_trap 2
.LBB6_160:                              ;   in Loop: Header=BB6_49 Depth=1
	s_or_b64 exec, exec, s[72:73]
	;;#ASMSTART
	s_wakeup
	;;#ASMEND
.LBB6_161:                              ;   in Loop: Header=BB6_49 Depth=1
	s_or_b64 exec, exec, s[62:63]
.LBB6_162:                              ;   in Loop: Header=BB6_49 Depth=1
	s_andn2_saveexec_b64 s[60:61], s[60:61]
	s_cbranch_execz .LBB6_164
; %bb.163:                              ;   in Loop: Header=BB6_49 Depth=1
	s_waitcnt vmcnt(0) lgkmcnt(0)
	buffer_wbinvl1_vol
	s_barrier
.LBB6_164:                              ;   in Loop: Header=BB6_49 Depth=1
	s_or_b64 exec, exec, s[60:61]
.LBB6_165:                              ;   in Loop: Header=BB6_49 Depth=1
	s_or_b64 exec, exec, s[58:59]
	v_and_b32_e32 v2, 16, v54
	v_cmp_ne_u32_e32 vcc, 0, v2
	s_and_b64 s[58:59], vcc, s[20:21]
	s_and_saveexec_b64 s[20:21], s[58:59]
	s_cbranch_execz .LBB6_167
; %bb.166:                              ;   in Loop: Header=BB6_49 Depth=1
	s_waitcnt vmcnt(0) lgkmcnt(0)
	buffer_wbinvl1_vol
.LBB6_167:                              ;   in Loop: Header=BB6_49 Depth=1
	s_or_b64 exec, exec, s[20:21]
	v_cmp_ne_u32_e32 vcc, 0, v2
	s_xor_b64 s[20:21], s[18:19], -1
	s_and_b64 s[58:59], vcc, s[20:21]
	s_and_saveexec_b64 s[20:21], s[58:59]
	s_cbranch_execz .LBB6_169
; %bb.168:                              ;   in Loop: Header=BB6_49 Depth=1
	flat_store_dword v[6:7], v26
.LBB6_169:                              ;   in Loop: Header=BB6_49 Depth=1
	s_or_b64 exec, exec, s[20:21]
	v_and_b32_e32 v1, 48, v54
	v_cmp_ne_u32_e32 vcc, 0, v1
	s_and_saveexec_b64 s[20:21], vcc
	s_cbranch_execz .LBB6_171
; %bb.170:                              ;   in Loop: Header=BB6_49 Depth=1
	v_add_co_u32_e32 v48, vcc, 1, v48
	v_addc_co_u32_e32 v49, vcc, 0, v49, vcc
	flat_store_dwordx2 v[18:19], v[48:49]
.LBB6_171:                              ;   in Loop: Header=BB6_49 Depth=1
	s_or_b64 exec, exec, s[20:21]
	v_mov_b32_e32 v2, v58
.LBB6_172:                              ;   in Loop: Header=BB6_49 Depth=1
	s_or_b64 exec, exec, s[56:57]
	s_and_saveexec_b64 s[56:57], s[46:47]
	s_cbranch_execz .LBB6_48
; %bb.173:                              ;   in Loop: Header=BB6_49 Depth=1
	v_sub_u32_e32 v1, v32, v2
	v_min_i32_e32 v32, v58, v1
	v_and_b32_e32 v1, 12, v54
	v_cmp_ne_u32_e32 vcc, 0, v1
	s_and_saveexec_b64 s[46:47], vcc
	s_cbranch_execz .LBB6_199
; %bb.174:                              ;   in Loop: Header=BB6_49 Depth=1
	v_and_b32_e32 v2, 8, v54
	v_add_co_u32_e32 v3, vcc, v22, v2
	v_addc_co_u32_e32 v4, vcc, 0, v23, vcc
	s_waitcnt lgkmcnt(0)
	v_add_co_u32_e32 v34, vcc, 1, v48
	v_addc_co_u32_e32 v35, vcc, 0, v49, vcc
	v_cmp_lt_u64_e32 vcc, v[3:4], v[34:35]
	s_and_saveexec_b64 s[58:59], vcc
	s_cbranch_execz .LBB6_186
; %bb.175:                              ;   in Loop: Header=BB6_49 Depth=1
	v_and_b32_e32 v1, 64, v54
	s_mov_b32 s94, 0
	v_cmp_eq_u32_e32 vcc, 0, v1
	s_mov_b64 s[60:61], 0
                                        ; implicit-def: $sgpr62_sgpr63
                                        ; implicit-def: $sgpr72_sgpr73
                                        ; implicit-def: $sgpr74_sgpr75
	s_branch .LBB6_179
.LBB6_176:                              ;   in Loop: Header=BB6_179 Depth=2
	s_waitcnt vmcnt(0) lgkmcnt(0)
	v_add_co_u32_e64 v4, s[20:21], v22, v2
	v_addc_co_u32_e64 v5, s[20:21], 0, v23, s[20:21]
	v_cmp_ge_u64_e64 s[20:21], v[4:5], v[34:35]
	s_or_b64 s[88:89], s[88:89], exec
	s_orn2_b64 s[78:79], s[20:21], exec
.LBB6_177:                              ;   in Loop: Header=BB6_179 Depth=2
	s_or_b64 exec, exec, s[92:93]
	s_andn2_b64 s[20:21], s[74:75], exec
	s_and_b64 s[74:75], s[88:89], exec
	s_or_b64 s[74:75], s[20:21], s[74:75]
	s_andn2_b64 s[20:21], s[72:73], exec
	s_and_b64 s[72:73], s[78:79], exec
	s_or_b64 s[72:73], s[20:21], s[72:73]
.LBB6_178:                              ;   in Loop: Header=BB6_179 Depth=2
	s_or_b64 exec, exec, s[76:77]
	s_and_b64 s[20:21], exec, s[72:73]
	s_or_b64 s[60:61], s[20:21], s[60:61]
	s_andn2_b64 s[20:21], s[62:63], exec
	s_and_b64 s[62:63], s[74:75], exec
	s_or_b64 s[62:63], s[20:21], s[62:63]
	s_andn2_b64 exec, exec, s[60:61]
	s_cbranch_execz .LBB6_183
.LBB6_179:                              ;   Parent Loop BB6_49 Depth=1
                                        ; =>  This Inner Loop Header: Depth=2
	s_sleep 1
	s_waitcnt vmcnt(0) lgkmcnt(0)
	flat_load_dwordx2 v[22:23], v[18:19] glc
	s_or_b64 s[74:75], s[74:75], exec
	s_or_b64 s[72:73], s[72:73], exec
                                        ; implicit-def: $vgpr3
	s_and_saveexec_b64 s[76:77], vcc
	s_cbranch_execz .LBB6_178
; %bb.180:                              ;   in Loop: Header=BB6_179 Depth=2
	s_cmpk_lt_i32 s94, 0x270f
	s_cselect_b64 s[90:91], -1, 0
	s_cmpk_gt_i32 s94, 0x270e
	s_mov_b64 s[78:79], -1
	s_cbranch_scc0 .LBB6_182
; %bb.181:                              ;   in Loop: Header=BB6_179 Depth=2
	s_trap 2
	ds_read_b64 v[3:4], v0
	s_andn2_b64 s[90:91], s[90:91], exec
	s_mov_b32 s94, 0
	s_mov_b64 s[88:89], 0
	s_waitcnt vmcnt(0) lgkmcnt(0)
	flat_load_dword v3, v[3:4] glc
	s_waitcnt vmcnt(0) lgkmcnt(0)
	buffer_wbinvl1_vol
	v_cmp_eq_u32_e64 s[20:21], 0, v3
	s_and_b64 s[20:21], s[20:21], exec
	s_or_b64 s[90:91], s[90:91], s[20:21]
	s_and_saveexec_b64 s[92:93], s[90:91]
	s_cbranch_execz .LBB6_177
	s_branch .LBB6_176
.LBB6_182:                              ;   in Loop: Header=BB6_179 Depth=2
	s_add_i32 s94, s94, 1
	s_mov_b64 s[88:89], -1
                                        ; implicit-def: $vgpr3
	s_and_saveexec_b64 s[92:93], s[90:91]
	s_cbranch_execz .LBB6_177
	s_branch .LBB6_176
.LBB6_183:                              ;   in Loop: Header=BB6_49 Depth=1
	s_or_b64 exec, exec, s[60:61]
	s_xor_b64 s[20:21], s[62:63], -1
	s_and_saveexec_b64 s[60:61], s[20:21]
	s_xor_b64 s[20:21], exec, s[60:61]
	s_cbranch_execz .LBB6_185
; %bb.184:                              ;   in Loop: Header=BB6_49 Depth=1
	v_or_b32_e32 v54, 64, v54
	s_waitcnt lgkmcnt(0)
	ds_write_b32 v0, v3
	s_trap 2
.LBB6_185:                              ;   in Loop: Header=BB6_49 Depth=1
	s_or_b64 exec, exec, s[20:21]
.LBB6_186:                              ;   in Loop: Header=BB6_49 Depth=1
	s_or_b64 exec, exec, s[58:59]
	v_and_b32_e32 v1, 0x108, v54
	v_cmp_ne_u32_e32 vcc, s34, v1
	v_and_b32_e32 v3, 7, v48
	;;#ASMSTART
	s_wakeup
	;;#ASMEND
	s_and_saveexec_b64 s[20:21], vcc
	s_xor_b64 s[20:21], exec, s[20:21]
                                        ; implicit-def: $vgpr27
; %bb.187:                              ;   in Loop: Header=BB6_49 Depth=1
	v_mov_b32_e32 v27, v24
; %bb.188:                              ;   in Loop: Header=BB6_49 Depth=1
	s_andn2_saveexec_b64 s[20:21], s[20:21]
	s_cbranch_execz .LBB6_190
; %bb.189:                              ;   in Loop: Header=BB6_49 Depth=1
	v_mad_u64_u32 v[4:5], s[58:59], v3, 24, v[46:47]
	v_ashrrev_i32_e32 v33, 31, v32
	v_lshlrev_b64 v[6:7], 1, v[32:33]
	v_mov_b32_e32 v27, v24
	flat_store_dwordx2 v[4:5], v[6:7] offset:8
	buffer_load_dword v6, off, s[0:3], s33 offset:84 ; 4-byte Folded Reload
	s_nop 0
	buffer_load_dword v7, off, s[0:3], s33 offset:88 ; 4-byte Folded Reload
.LBB6_190:                              ;   in Loop: Header=BB6_49 Depth=1
	s_or_b64 exec, exec, s[20:21]
	v_and_b32_e32 v1, 0x100, v54
	v_cmp_ne_u32_e32 vcc, 0, v1
	s_mov_b64 s[20:21], -1
                                        ; implicit-def: $vgpr8_vgpr9
	s_and_saveexec_b64 s[58:59], vcc
	s_cbranch_execz .LBB6_194
; %bb.191:                              ;   in Loop: Header=BB6_49 Depth=1
	v_mad_u64_u32 v[36:37], s[20:21], v3, 24, v[46:47]
                                        ; implicit-def: $vgpr8_vgpr9
	v_mov_b32_e32 v1, v37
	v_mad_u64_u32 v[4:5], s[20:21], v27, 24, v[1:2]
	v_mov_b32_e32 v37, v4
	flat_load_dword v1, v[36:37]
	s_waitcnt vmcnt(0) lgkmcnt(0)
	v_cmp_ne_u32_e32 vcc, 1, v1
	v_cmp_eq_u32_e64 s[20:21], 1, v1
	s_and_saveexec_b64 s[60:61], s[20:21]
	s_cbranch_execz .LBB6_193
; %bb.192:                              ;   in Loop: Header=BB6_49 Depth=1
	flat_load_dword v4, v[36:37] offset:4 glc
	s_waitcnt vmcnt(0) lgkmcnt(0)
	v_ashrrev_i32_e32 v5, 31, v4
	v_lshrrev_b64 v[8:9], 1, v[4:5]
.LBB6_193:                              ;   in Loop: Header=BB6_49 Depth=1
	s_or_b64 exec, exec, s[60:61]
	s_orn2_b64 s[20:21], vcc, exec
.LBB6_194:                              ;   in Loop: Header=BB6_49 Depth=1
	s_or_b64 exec, exec, s[58:59]
	s_and_saveexec_b64 s[58:59], s[20:21]
	s_cbranch_execz .LBB6_196
; %bb.195:                              ;   in Loop: Header=BB6_49 Depth=1
	v_mul_lo_u32 v1, v27, v59
	v_mul_lo_u32 v4, v3, v45
	v_mad_u64_u32 v[8:9], s[20:21], v3, v59, 0
	v_add3_u32 v9, v9, v4, v1
.LBB6_196:                              ;   in Loop: Header=BB6_49 Depth=1
	s_or_b64 exec, exec, s[58:59]
	v_cmp_eq_u32_e32 vcc, 0, v2
	v_lshlrev_b64 v[1:2], 1, v[8:9]
	v_cndmask_b32_e32 v3, v30, v52, vcc
	s_waitcnt vmcnt(0)
	v_add_co_u32_e32 v1, vcc, v10, v1
	v_addc_co_u32_e32 v2, vcc, v11, v2, vcc
	v_add_u32_e32 v3, v0, v3
	ds_write_b64 v3, v[1:2] offset:584
	v_and_b32_e32 v1, 0x2000, v54
	v_cmp_ne_u32_e32 vcc, 0, v1
	s_and_saveexec_b64 s[20:21], vcc
	s_cbranch_execz .LBB6_198
; %bb.197:                              ;   in Loop: Header=BB6_49 Depth=1
	ds_read_b64 v[1:2], v0 offset:872
	s_waitcnt lgkmcnt(0)
	v_add_co_u32_e32 v1, vcc, 1, v1
	v_addc_co_u32_e32 v2, vcc, 0, v2, vcc
	ds_write_b64 v0, v[1:2] offset:872
.LBB6_198:                              ;   in Loop: Header=BB6_49 Depth=1
	s_or_b64 exec, exec, s[20:21]
	v_mov_b32_e32 v49, v35
	v_mov_b32_e32 v48, v34
.LBB6_199:                              ;   in Loop: Header=BB6_49 Depth=1
	s_or_b64 exec, exec, s[46:47]
	s_and_saveexec_b64 s[20:21], s[10:11]
	s_cbranch_execz .LBB6_218
; %bb.200:                              ;   in Loop: Header=BB6_49 Depth=1
	s_and_saveexec_b64 s[46:47], s[40:41]
	s_xor_b64 s[46:47], exec, s[46:47]
	s_cbranch_execz .LBB6_215
; %bb.201:                              ;   in Loop: Header=BB6_49 Depth=1
	s_and_saveexec_b64 s[58:59], s[12:13]
	s_cbranch_execz .LBB6_214
; %bb.202:                              ;   in Loop: Header=BB6_49 Depth=1
	s_mov_b64 s[62:63], exec
	v_mbcnt_lo_u32_b32 v1, s62, 0
	v_mbcnt_hi_u32_b32 v1, s63, v1
	v_cmp_eq_u32_e32 vcc, 0, v1
	s_waitcnt vmcnt(0) lgkmcnt(0)
	buffer_wbinvl1_vol
	s_and_saveexec_b64 s[60:61], vcc
	s_cbranch_execz .LBB6_204
; %bb.203:                              ;   in Loop: Header=BB6_49 Depth=1
	s_bcnt1_i32_b64 s62, s[62:63]
	v_mov_b32_e32 v1, s62
	v_mov_b32_e32 v2, v24
	ds_add_u64 v0, v[1:2]
	s_trap 2
.LBB6_204:                              ;   in Loop: Header=BB6_49 Depth=1
	s_or_b64 exec, exec, s[60:61]
	s_trap 2
	ds_read_b64 v[1:2], v0
	s_waitcnt lgkmcnt(0)
	v_add_co_u32_e32 v20, vcc, v20, v39
	v_addc_co_u32_e32 v21, vcc, 0, v21, vcc
	v_cmp_lt_u64_e32 vcc, v[1:2], v[20:21]
	s_and_saveexec_b64 s[60:61], vcc
	s_cbranch_execz .LBB6_213
; %bb.205:                              ;   in Loop: Header=BB6_49 Depth=1
	s_mov_b32 s90, 0
	s_mov_b64 s[62:63], 0
                                        ; implicit-def: $sgpr72_sgpr73
                                        ; implicit-def: $sgpr74_sgpr75
	s_branch .LBB6_207
.LBB6_206:                              ;   in Loop: Header=BB6_207 Depth=2
	s_or_b64 exec, exec, s[78:79]
	s_and_b64 s[76:77], exec, s[88:89]
	s_or_b64 s[62:63], s[76:77], s[62:63]
	s_andn2_b64 s[72:73], s[72:73], exec
	s_and_b64 s[76:77], s[74:75], exec
	s_or_b64 s[72:73], s[72:73], s[76:77]
	s_andn2_b64 exec, exec, s[62:63]
	s_cbranch_execz .LBB6_211
.LBB6_207:                              ;   Parent Loop BB6_49 Depth=1
                                        ; =>  This Inner Loop Header: Depth=2
	s_add_i32 s90, s90, 1
	s_cmpk_lg_i32 s90, 0x2710
	s_cselect_b64 s[76:77], -1, 0
	s_and_b64 vcc, exec, s[76:77]
	s_cbranch_vccz .LBB6_209
; %bb.208:                              ;   in Loop: Header=BB6_207 Depth=2
	s_mov_b64 s[88:89], -1
	s_or_b64 s[74:75], s[74:75], exec
	s_and_saveexec_b64 s[78:79], s[76:77]
	s_cbranch_execz .LBB6_206
	s_branch .LBB6_210
.LBB6_209:                              ;   in Loop: Header=BB6_207 Depth=2
	s_trap 2
	ds_read_b64 v[1:2], v0
	s_andn2_b64 s[76:77], s[76:77], exec
	s_mov_b32 s90, 0
	s_waitcnt lgkmcnt(0)
	flat_load_dword v1, v[1:2] glc
	s_waitcnt vmcnt(0) lgkmcnt(0)
	buffer_wbinvl1_vol
	v_cmp_eq_u32_e32 vcc, 0, v1
	s_and_b64 s[78:79], vcc, exec
	s_or_b64 s[76:77], s[76:77], s[78:79]
	s_mov_b64 s[88:89], -1
	s_or_b64 s[74:75], s[74:75], exec
	s_and_saveexec_b64 s[78:79], s[76:77]
	s_cbranch_execz .LBB6_206
.LBB6_210:                              ;   in Loop: Header=BB6_207 Depth=2
	s_sleep 1
	s_trap 2
	ds_read_b64 v[1:2], v0
	s_waitcnt lgkmcnt(0)
	s_andn2_b64 s[74:75], s[74:75], exec
	v_cmp_ge_u64_e32 vcc, v[1:2], v[20:21]
	s_orn2_b64 s[88:89], vcc, exec
	s_branch .LBB6_206
.LBB6_211:                              ;   in Loop: Header=BB6_49 Depth=1
	s_or_b64 exec, exec, s[62:63]
	s_and_saveexec_b64 s[62:63], s[72:73]
	s_xor_b64 s[62:63], exec, s[62:63]
	s_cbranch_execz .LBB6_213
; %bb.212:                              ;   in Loop: Header=BB6_49 Depth=1
	ds_write_b32 v0, v26
	s_trap 2
.LBB6_213:                              ;   in Loop: Header=BB6_49 Depth=1
	s_or_b64 exec, exec, s[60:61]
	;;#ASMSTART
	s_wakeup
	;;#ASMEND
.LBB6_214:                              ;   in Loop: Header=BB6_49 Depth=1
	s_or_b64 exec, exec, s[58:59]
.LBB6_215:                              ;   in Loop: Header=BB6_49 Depth=1
	s_andn2_saveexec_b64 s[46:47], s[46:47]
	s_cbranch_execz .LBB6_217
; %bb.216:                              ;   in Loop: Header=BB6_49 Depth=1
	s_waitcnt vmcnt(0) lgkmcnt(0)
	buffer_wbinvl1_vol
	s_barrier
.LBB6_217:                              ;   in Loop: Header=BB6_49 Depth=1
	s_or_b64 exec, exec, s[46:47]
.LBB6_218:                              ;   in Loop: Header=BB6_49 Depth=1
	s_or_b64 exec, exec, s[20:21]
	s_trap 2
	ds_read_b32 v1, v0
	v_cmp_lt_i32_e32 vcc, 0, v32
	v_and_b32_e32 v2, 16, v54
	s_waitcnt lgkmcnt(0)
	v_readfirstlane_b32 s20, v1
	s_cmp_eq_u32 s20, 0
	s_cselect_b64 s[20:21], -1, 0
	s_and_b64 s[20:21], vcc, s[20:21]
	v_cmp_ne_u32_e32 vcc, 0, v2
	s_and_b64 s[46:47], vcc, s[20:21]
	s_and_saveexec_b64 s[20:21], s[46:47]
	s_cbranch_execz .LBB6_220
; %bb.219:                              ;   in Loop: Header=BB6_49 Depth=1
	s_waitcnt vmcnt(0)
	buffer_wbinvl1_vol
.LBB6_220:                              ;   in Loop: Header=BB6_49 Depth=1
	s_or_b64 exec, exec, s[20:21]
	v_cmp_ne_u32_e32 vcc, 0, v2
	s_xor_b64 s[20:21], s[18:19], -1
	s_and_b64 s[46:47], vcc, s[20:21]
	s_and_saveexec_b64 s[20:21], s[46:47]
	s_cbranch_execz .LBB6_222
; %bb.221:                              ;   in Loop: Header=BB6_49 Depth=1
	flat_store_dword v[6:7], v26
.LBB6_222:                              ;   in Loop: Header=BB6_49 Depth=1
	s_or_b64 exec, exec, s[20:21]
	v_and_b32_e32 v1, 48, v54
	v_cmp_ne_u32_e32 vcc, 0, v1
	s_and_saveexec_b64 s[20:21], vcc
	s_cbranch_execz .LBB6_47
; %bb.223:                              ;   in Loop: Header=BB6_49 Depth=1
	v_add_co_u32_e32 v48, vcc, 1, v48
	v_addc_co_u32_e32 v49, vcc, 0, v49, vcc
	flat_store_dwordx2 v[18:19], v[48:49]
	s_branch .LBB6_47
.LBB6_224:
	s_or_b64 exec, exec, s[42:43]
.LBB6_225:
	s_or_b64 exec, exec, s[28:29]
                                        ; implicit-def: $vgpr50_vgpr51
                                        ; implicit-def: $vgpr41_vgpr42
                                        ; implicit-def: $vgpr59
                                        ; implicit-def: $vgpr22_vgpr23
                                        ; implicit-def: $vgpr10_vgpr11
                                        ; implicit-def: $vgpr18_vgpr19
                                        ; implicit-def: $vgpr40
                                        ; implicit-def: $vgpr36
                                        ; implicit-def: $vgpr12
.LBB6_226:
	s_andn2_saveexec_b64 s[20:21], s[26:27]
	s_cbranch_execz .LBB6_396
; %bb.227:
	v_mov_b32_e32 v20, 0
	v_cmp_ne_u64_e32 vcc, 0, v[41:42]
	v_mov_b32_e32 v21, 0
	s_and_saveexec_b64 s[26:27], vcc
	s_cbranch_execz .LBB6_395
; %bb.228:
	v_and_b32_e32 v0, 63, v31
	v_cmp_eq_u32_e64 s[12:13], 0, v0
	v_ashrrev_i32_e32 v0, 31, v40
	v_lshrrev_b32_e32 v0, 26, v0
	v_add_u32_e32 v0, v40, v0
	v_ashrrev_i32_e32 v25, 6, v0
	v_and_b32_e32 v0, 0xffffffc0, v0
	v_sub_u32_e32 v1, v40, v0
	v_lshlrev_b32_e32 v0, 12, v25
	v_lshl_add_u32 v0, v1, 4, v0
	buffer_store_dword v43, off, s[0:3], s33 offset:144 ; 4-byte Folded Spill
	s_nop 0
	buffer_store_dword v44, off, s[0:3], s33 offset:148 ; 4-byte Folded Spill
	s_trap 2
	buffer_store_dword v0, off, s[0:3], s33 offset:192 ; 4-byte Folded Spill
	v_ashrrev_i32_e32 v0, 31, v0
	s_lshr_b32 s6, s30, 27
	buffer_store_dword v0, off, s[0:3], s33 offset:196 ; 4-byte Folded Spill
	v_lshlrev_b32_e32 v0, 1, v14
	s_add_i32 s6, s30, s6
	v_cmp_eq_u32_e32 vcc, 64, v14
	v_lshrrev_b32_e32 v55, 6, v14
	v_cmp_le_i32_e64 s[14:15], v1, v36
	v_cmp_gt_i32_e64 s[16:17], 1, v1
	buffer_store_dword v1, off, s[0:3], s33 offset:188 ; 4-byte Folded Spill
	v_and_b32_e32 v24, 0x7f80, v0
	v_mov_b32_e32 v26, 0
	v_mov_b32_e32 v20, 0
	;; [unrolled: 1-line block ×3, first 2 shown]
	s_ashr_i32 s94, s6, 5
	v_cmp_ge_i32_e64 s[6:7], v40, v14
	v_cmp_ne_u32_e64 s[10:11], 64, v14
	v_cmp_ne_u32_sdwa s[28:29], v14, v15 src0_sel:DWORD src1_sel:WORD_0
	v_mov_b32_e32 v61, 0
	v_lshlrev_b32_e32 v62, 12, v55
	s_mov_b64 s[40:41], 0
	v_mov_b32_e32 v27, 0
	v_mov_b32_e32 v21, 0
	s_xor_b64 s[42:43], vcc, -1
	s_movk_i32 s95, 0xfc00
	s_movk_i32 s31, 0xf880
	;; [unrolled: 1-line block ×15, first 2 shown]
	v_mov_b32_e32 v1, v42
	buffer_store_dword v15, off, s[0:3], s33 offset:140 ; 4-byte Folded Spill
	buffer_store_dword v31, off, s[0:3], s33 offset:136 ; 4-byte Folded Spill
	;; [unrolled: 1-line block ×5, first 2 shown]
	s_nop 0
	buffer_store_dword v1, off, s[0:3], s33 offset:104 ; 4-byte Folded Spill
	buffer_store_dword v2, off, s[0:3], s33 offset:108 ; 4-byte Folded Spill
	;; [unrolled: 1-line block ×4, first 2 shown]
	s_nop 0
	buffer_store_dword v51, off, s[0:3], s33 offset:124 ; 4-byte Folded Spill
	buffer_store_dword v59, off, s[0:3], s33 offset:116 ; 4-byte Folded Spill
	s_waitcnt vmcnt(0)
	buffer_store_dword v10, off, s[0:3], s33 offset:76 ; 4-byte Folded Spill
	s_nop 0
	buffer_store_dword v11, off, s[0:3], s33 offset:80 ; 4-byte Folded Spill
	buffer_store_dword v12, off, s[0:3], s33 offset:92 ; 4-byte Folded Spill
	s_nop 0
	buffer_store_dword v13, off, s[0:3], s33 offset:96 ; 4-byte Folded Spill
	buffer_store_dword v25, off, s[0:3], s33 offset:184 ; 4-byte Folded Spill
	s_branch .LBB6_231
.LBB6_229:                              ;   in Loop: Header=BB6_231 Depth=1
	s_or_b64 exec, exec, s[18:19]
.LBB6_230:                              ;   in Loop: Header=BB6_231 Depth=1
	s_or_b64 exec, exec, s[46:47]
	s_waitcnt vmcnt(0)
	v_add_co_u32_e32 v26, vcc, v26, v12
	v_addc_co_u32_e32 v27, vcc, 0, v27, vcc
	v_cmp_ge_u64_e32 vcc, v[26:27], v[41:42]
	s_or_b64 s[40:41], vcc, s[40:41]
	s_andn2_b64 exec, exec, s[40:41]
	s_cbranch_execz .LBB6_394
.LBB6_231:                              ; =>This Loop Header: Depth=1
                                        ;     Child Loop BB6_240 Depth 2
                                        ;     Child Loop BB6_264 Depth 2
	;; [unrolled: 1-line block ×10, first 2 shown]
	v_sub_co_u32_e32 v0, vcc, v41, v26
	v_subb_co_u32_e32 v1, vcc, v42, v27, vcc
	v_cmp_lt_u64_e32 vcc, v[12:13], v[0:1]
	v_mov_b32_e32 v2, 0
	v_cndmask_b32_e64 v29, v1, 0, vcc
	v_cndmask_b32_e32 v28, v0, v12, vcc
	v_cmp_eq_u64_e32 vcc, 0, v[28:29]
	v_add_u32_e32 v0, 15, v28
	v_and_b32_e32 v0, 0x3ffffff0, v0
	s_or_b64 s[44:45], s[6:7], vcc
	v_max_i32_e32 v45, s94, v0
	s_xor_b64 s[18:19], s[44:45], -1
	s_and_saveexec_b64 s[46:47], s[18:19]
	s_cbranch_execz .LBB6_348
; %bb.232:                              ;   in Loop: Header=BB6_231 Depth=1
	s_and_saveexec_b64 s[18:19], s[4:5]
	s_cbranch_execz .LBB6_234
; %bb.233:                              ;   in Loop: Header=BB6_231 Depth=1
	s_trap 2
	ds_read2_b64 v[0:3], v0 offset1:1
	v_add_co_u32_e32 v4, vcc, v26, v50
	v_addc_co_u32_e32 v5, vcc, v27, v51, vcc
	v_lshlrev_b64 v[4:5], 1, v[4:5]
	s_waitcnt lgkmcnt(0)
	ds_read_b64 v[6:7], v0
	v_add_co_u32_e32 v0, vcc, v0, v4
	v_addc_co_u32_e32 v1, vcc, v1, v5, vcc
	ds_write_b64 v0, v[0:1]
	v_add_co_u32_e32 v0, vcc, v2, v4
	v_addc_co_u32_e32 v1, vcc, v3, v5, vcc
	ds_write_b64 v0, v[0:1]
	s_waitcnt lgkmcnt(2)
	v_add_co_u32_e32 v0, vcc, v6, v4
	v_addc_co_u32_e32 v1, vcc, v7, v5, vcc
	v_cmp_ne_u64_e32 vcc, 0, v[6:7]
	v_cndmask_b32_e32 v1, 0, v1, vcc
	v_cndmask_b32_e32 v0, 0, v0, vcc
	ds_write_b64 v0, v[0:1]
.LBB6_234:                              ;   in Loop: Header=BB6_231 Depth=1
	s_or_b64 exec, exec, s[18:19]
	v_and_b32_e32 v0, 4, v54
	v_cmp_ne_u32_e32 vcc, 0, v0
	s_and_saveexec_b64 s[56:57], vcc
	s_cbranch_execz .LBB6_256
; %bb.235:                              ;   in Loop: Header=BB6_231 Depth=1
	s_waitcnt lgkmcnt(0)
	v_add_co_u32_e32 v29, vcc, 1, v48
	v_addc_co_u32_e32 v30, vcc, 0, v49, vcc
	v_cmp_lt_u64_e32 vcc, v[22:23], v[29:30]
	s_and_saveexec_b64 s[58:59], vcc
	s_cbranch_execz .LBB6_247
; %bb.236:                              ;   in Loop: Header=BB6_231 Depth=1
	v_and_b32_e32 v0, 64, v54
	s_mov_b32 s55, 0
	v_cmp_eq_u32_e32 vcc, 0, v0
	s_mov_b64 s[60:61], 0
                                        ; implicit-def: $sgpr62_sgpr63
                                        ; implicit-def: $sgpr72_sgpr73
                                        ; implicit-def: $sgpr74_sgpr75
	s_branch .LBB6_240
.LBB6_237:                              ;   in Loop: Header=BB6_240 Depth=2
	s_waitcnt vmcnt(0) lgkmcnt(0)
	v_cmp_ge_u64_e64 s[18:19], v[22:23], v[29:30]
	s_or_b64 s[88:89], s[88:89], exec
	s_orn2_b64 s[78:79], s[18:19], exec
.LBB6_238:                              ;   in Loop: Header=BB6_240 Depth=2
	s_or_b64 exec, exec, s[92:93]
	s_andn2_b64 s[18:19], s[74:75], exec
	s_and_b64 s[74:75], s[88:89], exec
	s_or_b64 s[74:75], s[18:19], s[74:75]
	s_andn2_b64 s[18:19], s[72:73], exec
	s_and_b64 s[72:73], s[78:79], exec
	s_or_b64 s[72:73], s[18:19], s[72:73]
.LBB6_239:                              ;   in Loop: Header=BB6_240 Depth=2
	s_or_b64 exec, exec, s[76:77]
	s_and_b64 s[18:19], exec, s[72:73]
	s_or_b64 s[60:61], s[18:19], s[60:61]
	s_andn2_b64 s[18:19], s[62:63], exec
	s_and_b64 s[62:63], s[74:75], exec
	s_or_b64 s[62:63], s[18:19], s[62:63]
	s_andn2_b64 exec, exec, s[60:61]
	s_cbranch_execz .LBB6_244
.LBB6_240:                              ;   Parent Loop BB6_231 Depth=1
                                        ; =>  This Inner Loop Header: Depth=2
	s_sleep 1
	s_waitcnt vmcnt(0) lgkmcnt(0)
	flat_load_dwordx2 v[22:23], v[18:19] glc
	s_or_b64 s[74:75], s[74:75], exec
	s_or_b64 s[72:73], s[72:73], exec
                                        ; implicit-def: $vgpr2
	s_and_saveexec_b64 s[76:77], vcc
	s_cbranch_execz .LBB6_239
; %bb.241:                              ;   in Loop: Header=BB6_240 Depth=2
	s_cmpk_lt_i32 s55, 0x270f
	s_cselect_b64 s[90:91], -1, 0
	s_cmpk_gt_i32 s55, 0x270e
	s_mov_b64 s[78:79], -1
	s_cbranch_scc0 .LBB6_243
; %bb.242:                              ;   in Loop: Header=BB6_240 Depth=2
	s_trap 2
	ds_read_b64 v[0:1], v0
	s_andn2_b64 s[90:91], s[90:91], exec
	s_mov_b32 s55, 0
	s_mov_b64 s[88:89], 0
	s_waitcnt vmcnt(0) lgkmcnt(0)
	flat_load_dword v2, v[0:1] glc
	s_waitcnt vmcnt(0) lgkmcnt(0)
	buffer_wbinvl1_vol
	v_cmp_eq_u32_e64 s[18:19], 0, v2
	s_and_b64 s[18:19], s[18:19], exec
	s_or_b64 s[90:91], s[90:91], s[18:19]
	s_and_saveexec_b64 s[92:93], s[90:91]
	s_cbranch_execz .LBB6_238
	s_branch .LBB6_237
.LBB6_243:                              ;   in Loop: Header=BB6_240 Depth=2
	s_add_i32 s55, s55, 1
	s_mov_b64 s[88:89], -1
                                        ; implicit-def: $vgpr2
	s_and_saveexec_b64 s[92:93], s[90:91]
	s_cbranch_execz .LBB6_238
	s_branch .LBB6_237
.LBB6_244:                              ;   in Loop: Header=BB6_231 Depth=1
	s_or_b64 exec, exec, s[60:61]
	s_xor_b64 s[18:19], s[62:63], -1
	s_and_saveexec_b64 s[60:61], s[18:19]
	s_xor_b64 s[18:19], exec, s[60:61]
	s_cbranch_execz .LBB6_246
; %bb.245:                              ;   in Loop: Header=BB6_231 Depth=1
	v_or_b32_e32 v54, 64, v54
	s_waitcnt lgkmcnt(0)
	ds_write_b32 v0, v2
	s_trap 2
.LBB6_246:                              ;   in Loop: Header=BB6_231 Depth=1
	s_or_b64 exec, exec, s[18:19]
.LBB6_247:                              ;   in Loop: Header=BB6_231 Depth=1
	s_or_b64 exec, exec, s[58:59]
	v_and_b32_e32 v0, 0x100, v54
	v_cmp_ne_u32_e32 vcc, 0, v0
	v_and_b32_e32 v2, 7, v48
	s_mov_b64 s[18:19], -1
	;;#ASMSTART
	s_wakeup
	;;#ASMEND
                                        ; implicit-def: $vgpr8_vgpr9
	s_and_saveexec_b64 s[58:59], vcc
	s_cbranch_execz .LBB6_251
; %bb.248:                              ;   in Loop: Header=BB6_231 Depth=1
	v_mad_u64_u32 v[32:33], s[18:19], v2, 24, v[46:47]
                                        ; implicit-def: $vgpr8_vgpr9
	flat_load_dword v0, v[32:33]
	s_waitcnt vmcnt(0) lgkmcnt(0)
	v_cmp_ne_u32_e32 vcc, 1, v0
	v_cmp_eq_u32_e64 s[18:19], 1, v0
	s_and_saveexec_b64 s[60:61], s[18:19]
	s_cbranch_execz .LBB6_250
; %bb.249:                              ;   in Loop: Header=BB6_231 Depth=1
	flat_load_dword v0, v[32:33] offset:4 glc
	s_waitcnt vmcnt(0) lgkmcnt(0)
	v_ashrrev_i32_e32 v1, 31, v0
	v_lshrrev_b64 v[8:9], 1, v[0:1]
.LBB6_250:                              ;   in Loop: Header=BB6_231 Depth=1
	s_or_b64 exec, exec, s[60:61]
	s_orn2_b64 s[18:19], vcc, exec
.LBB6_251:                              ;   in Loop: Header=BB6_231 Depth=1
	s_or_b64 exec, exec, s[58:59]
	s_and_saveexec_b64 s[58:59], s[18:19]
; %bb.252:                              ;   in Loop: Header=BB6_231 Depth=1
	v_mad_i64_i32 v[8:9], s[18:19], v2, v59, 0
; %bb.253:                              ;   in Loop: Header=BB6_231 Depth=1
	s_or_b64 exec, exec, s[58:59]
	v_lshlrev_b64 v[0:1], 1, v[8:9]
	v_add_co_u32_e32 v0, vcc, v10, v0
	v_addc_co_u32_e32 v1, vcc, v11, v1, vcc
	ds_write_b64 v0, v[0:1] offset:728
	v_and_b32_e32 v0, 0x2000, v54
	v_cmp_ne_u32_e32 vcc, 0, v0
	s_and_saveexec_b64 s[18:19], vcc
	s_cbranch_execz .LBB6_255
; %bb.254:                              ;   in Loop: Header=BB6_231 Depth=1
	ds_read_b64 v[0:1], v0 offset:872
	s_waitcnt lgkmcnt(0)
	v_add_co_u32_e32 v0, vcc, 1, v0
	v_addc_co_u32_e32 v1, vcc, 0, v1, vcc
	ds_write_b64 v0, v[0:1] offset:872
.LBB6_255:                              ;   in Loop: Header=BB6_231 Depth=1
	s_or_b64 exec, exec, s[18:19]
	v_mov_b32_e32 v49, v30
	v_mov_b32_e32 v48, v29
.LBB6_256:                              ;   in Loop: Header=BB6_231 Depth=1
	s_or_b64 exec, exec, s[56:57]
	s_and_saveexec_b64 s[18:19], s[10:11]
	s_cbranch_execz .LBB6_275
; %bb.257:                              ;   in Loop: Header=BB6_231 Depth=1
	s_and_saveexec_b64 s[56:57], s[28:29]
	s_xor_b64 s[56:57], exec, s[56:57]
	s_cbranch_execz .LBB6_272
; %bb.258:                              ;   in Loop: Header=BB6_231 Depth=1
	s_and_saveexec_b64 s[58:59], s[12:13]
	s_cbranch_execz .LBB6_271
; %bb.259:                              ;   in Loop: Header=BB6_231 Depth=1
	s_mov_b64 s[62:63], exec
	v_mbcnt_lo_u32_b32 v0, s62, 0
	v_mbcnt_hi_u32_b32 v0, s63, v0
	v_cmp_eq_u32_e32 vcc, 0, v0
	s_waitcnt vmcnt(0) lgkmcnt(0)
	buffer_wbinvl1_vol
	s_and_saveexec_b64 s[60:61], vcc
	s_cbranch_execz .LBB6_261
; %bb.260:                              ;   in Loop: Header=BB6_231 Depth=1
	s_bcnt1_i32_b64 s62, s[62:63]
	v_mov_b32_e32 v60, s62
	ds_add_u64 v0, v[60:61]
	s_trap 2
.LBB6_261:                              ;   in Loop: Header=BB6_231 Depth=1
	s_or_b64 exec, exec, s[60:61]
	s_trap 2
	ds_read_b64 v[0:1], v0
	s_waitcnt lgkmcnt(0)
	v_add_co_u32_e32 v20, vcc, v20, v55
	v_addc_co_u32_e32 v21, vcc, 0, v21, vcc
	v_cmp_lt_u64_e32 vcc, v[0:1], v[20:21]
	s_and_saveexec_b64 s[60:61], vcc
	s_cbranch_execz .LBB6_270
; %bb.262:                              ;   in Loop: Header=BB6_231 Depth=1
	s_mov_b32 s90, 0
	s_mov_b64 s[62:63], 0
                                        ; implicit-def: $sgpr72_sgpr73
                                        ; implicit-def: $sgpr74_sgpr75
	s_branch .LBB6_264
.LBB6_263:                              ;   in Loop: Header=BB6_264 Depth=2
	s_or_b64 exec, exec, s[78:79]
	s_and_b64 s[76:77], exec, s[88:89]
	s_or_b64 s[62:63], s[76:77], s[62:63]
	s_andn2_b64 s[72:73], s[72:73], exec
	s_and_b64 s[76:77], s[74:75], exec
	s_or_b64 s[72:73], s[72:73], s[76:77]
	s_andn2_b64 exec, exec, s[62:63]
	s_cbranch_execz .LBB6_268
.LBB6_264:                              ;   Parent Loop BB6_231 Depth=1
                                        ; =>  This Inner Loop Header: Depth=2
	s_add_i32 s90, s90, 1
	s_cmpk_lg_i32 s90, 0x2710
	s_cselect_b64 s[76:77], -1, 0
	s_and_b64 vcc, exec, s[76:77]
	s_cbranch_vccz .LBB6_266
; %bb.265:                              ;   in Loop: Header=BB6_264 Depth=2
	s_mov_b64 s[88:89], -1
	s_or_b64 s[74:75], s[74:75], exec
	s_and_saveexec_b64 s[78:79], s[76:77]
	s_cbranch_execz .LBB6_263
	s_branch .LBB6_267
.LBB6_266:                              ;   in Loop: Header=BB6_264 Depth=2
	s_trap 2
	ds_read_b64 v[0:1], v0
	s_andn2_b64 s[76:77], s[76:77], exec
	s_mov_b32 s90, 0
	s_waitcnt lgkmcnt(0)
	flat_load_dword v0, v[0:1] glc
	s_waitcnt vmcnt(0) lgkmcnt(0)
	buffer_wbinvl1_vol
	v_cmp_eq_u32_e32 vcc, 0, v0
	s_and_b64 s[78:79], vcc, exec
	s_or_b64 s[76:77], s[76:77], s[78:79]
	s_mov_b64 s[88:89], -1
	s_or_b64 s[74:75], s[74:75], exec
	s_and_saveexec_b64 s[78:79], s[76:77]
	s_cbranch_execz .LBB6_263
.LBB6_267:                              ;   in Loop: Header=BB6_264 Depth=2
	s_sleep 1
	s_trap 2
	ds_read_b64 v[0:1], v0
	s_waitcnt lgkmcnt(0)
	s_andn2_b64 s[74:75], s[74:75], exec
	v_cmp_ge_u64_e32 vcc, v[0:1], v[20:21]
	s_orn2_b64 s[88:89], vcc, exec
	s_branch .LBB6_263
.LBB6_268:                              ;   in Loop: Header=BB6_231 Depth=1
	s_or_b64 exec, exec, s[62:63]
	s_and_saveexec_b64 s[62:63], s[72:73]
	s_xor_b64 s[62:63], exec, s[62:63]
	s_cbranch_execz .LBB6_270
; %bb.269:                              ;   in Loop: Header=BB6_231 Depth=1
	v_mov_b32_e32 v0, 1
	ds_write_b32 v0, v0
	s_trap 2
.LBB6_270:                              ;   in Loop: Header=BB6_231 Depth=1
	s_or_b64 exec, exec, s[60:61]
	;;#ASMSTART
	s_wakeup
	;;#ASMEND
.LBB6_271:                              ;   in Loop: Header=BB6_231 Depth=1
	s_or_b64 exec, exec, s[58:59]
.LBB6_272:                              ;   in Loop: Header=BB6_231 Depth=1
	s_andn2_saveexec_b64 s[56:57], s[56:57]
	s_cbranch_execz .LBB6_274
; %bb.273:                              ;   in Loop: Header=BB6_231 Depth=1
	s_waitcnt vmcnt(0) lgkmcnt(0)
	buffer_wbinvl1_vol
	s_barrier
.LBB6_274:                              ;   in Loop: Header=BB6_231 Depth=1
	s_or_b64 exec, exec, s[56:57]
.LBB6_275:                              ;   in Loop: Header=BB6_231 Depth=1
	s_or_b64 exec, exec, s[18:19]
	s_trap 2
	ds_read_b32 v2, v0
	v_and_b32_e32 v0, 0x4000, v54
	v_cmp_ne_u32_e32 vcc, 0, v0
	s_and_b64 s[56:57], s[42:43], vcc
	s_and_saveexec_b64 s[18:19], s[56:57]
	s_cbranch_execz .LBB6_294
; %bb.276:                              ;   in Loop: Header=BB6_231 Depth=1
	s_and_saveexec_b64 s[56:57], s[28:29]
	s_xor_b64 s[56:57], exec, s[56:57]
	s_cbranch_execz .LBB6_291
; %bb.277:                              ;   in Loop: Header=BB6_231 Depth=1
	s_and_saveexec_b64 s[58:59], s[12:13]
	s_cbranch_execz .LBB6_290
; %bb.278:                              ;   in Loop: Header=BB6_231 Depth=1
	s_mov_b64 s[62:63], exec
	v_mbcnt_lo_u32_b32 v0, s62, 0
	v_mbcnt_hi_u32_b32 v0, s63, v0
	v_cmp_eq_u32_e32 vcc, 0, v0
	s_waitcnt vmcnt(0) lgkmcnt(0)
	buffer_wbinvl1_vol
	s_and_saveexec_b64 s[60:61], vcc
	s_cbranch_execz .LBB6_280
; %bb.279:                              ;   in Loop: Header=BB6_231 Depth=1
	s_bcnt1_i32_b64 s62, s[62:63]
	v_mov_b32_e32 v60, s62
	ds_add_u64 v0, v[60:61]
	s_trap 2
.LBB6_280:                              ;   in Loop: Header=BB6_231 Depth=1
	s_or_b64 exec, exec, s[60:61]
	s_trap 2
	ds_read_b64 v[0:1], v0
	s_waitcnt lgkmcnt(0)
	v_add_co_u32_e32 v20, vcc, v20, v55
	v_addc_co_u32_e32 v21, vcc, 0, v21, vcc
	v_cmp_lt_u64_e32 vcc, v[0:1], v[20:21]
	s_and_saveexec_b64 s[60:61], vcc
	s_cbranch_execz .LBB6_289
; %bb.281:                              ;   in Loop: Header=BB6_231 Depth=1
	s_mov_b32 s90, 0
	s_mov_b64 s[62:63], 0
                                        ; implicit-def: $sgpr72_sgpr73
                                        ; implicit-def: $sgpr74_sgpr75
	s_branch .LBB6_283
.LBB6_282:                              ;   in Loop: Header=BB6_283 Depth=2
	s_or_b64 exec, exec, s[78:79]
	s_and_b64 s[76:77], exec, s[88:89]
	s_or_b64 s[62:63], s[76:77], s[62:63]
	s_andn2_b64 s[72:73], s[72:73], exec
	s_and_b64 s[76:77], s[74:75], exec
	s_or_b64 s[72:73], s[72:73], s[76:77]
	s_andn2_b64 exec, exec, s[62:63]
	s_cbranch_execz .LBB6_287
.LBB6_283:                              ;   Parent Loop BB6_231 Depth=1
                                        ; =>  This Inner Loop Header: Depth=2
	s_add_i32 s90, s90, 1
	s_cmpk_lg_i32 s90, 0x2710
	s_cselect_b64 s[76:77], -1, 0
	s_and_b64 vcc, exec, s[76:77]
	s_cbranch_vccz .LBB6_285
; %bb.284:                              ;   in Loop: Header=BB6_283 Depth=2
	s_mov_b64 s[88:89], -1
	s_or_b64 s[74:75], s[74:75], exec
	s_and_saveexec_b64 s[78:79], s[76:77]
	s_cbranch_execz .LBB6_282
	s_branch .LBB6_286
.LBB6_285:                              ;   in Loop: Header=BB6_283 Depth=2
	s_trap 2
	ds_read_b64 v[0:1], v0
	s_andn2_b64 s[76:77], s[76:77], exec
	s_mov_b32 s90, 0
	s_waitcnt lgkmcnt(0)
	flat_load_dword v0, v[0:1] glc
	s_waitcnt vmcnt(0) lgkmcnt(0)
	buffer_wbinvl1_vol
	v_cmp_eq_u32_e32 vcc, 0, v0
	s_and_b64 s[78:79], vcc, exec
	s_or_b64 s[76:77], s[76:77], s[78:79]
	s_mov_b64 s[88:89], -1
	s_or_b64 s[74:75], s[74:75], exec
	s_and_saveexec_b64 s[78:79], s[76:77]
	s_cbranch_execz .LBB6_282
.LBB6_286:                              ;   in Loop: Header=BB6_283 Depth=2
	s_sleep 1
	s_trap 2
	ds_read_b64 v[0:1], v0
	s_waitcnt lgkmcnt(0)
	s_andn2_b64 s[74:75], s[74:75], exec
	v_cmp_ge_u64_e32 vcc, v[0:1], v[20:21]
	s_orn2_b64 s[88:89], vcc, exec
	s_branch .LBB6_282
.LBB6_287:                              ;   in Loop: Header=BB6_231 Depth=1
	s_or_b64 exec, exec, s[62:63]
	s_and_saveexec_b64 s[62:63], s[72:73]
	s_xor_b64 s[62:63], exec, s[62:63]
	s_cbranch_execz .LBB6_289
; %bb.288:                              ;   in Loop: Header=BB6_231 Depth=1
	v_mov_b32_e32 v0, 1
	ds_write_b32 v0, v0
	s_trap 2
.LBB6_289:                              ;   in Loop: Header=BB6_231 Depth=1
	s_or_b64 exec, exec, s[60:61]
	;;#ASMSTART
	s_wakeup
	;;#ASMEND
.LBB6_290:                              ;   in Loop: Header=BB6_231 Depth=1
	s_or_b64 exec, exec, s[58:59]
.LBB6_291:                              ;   in Loop: Header=BB6_231 Depth=1
	s_andn2_saveexec_b64 s[56:57], s[56:57]
	s_cbranch_execz .LBB6_293
; %bb.292:                              ;   in Loop: Header=BB6_231 Depth=1
	s_waitcnt vmcnt(0) lgkmcnt(0)
	buffer_wbinvl1_vol
	s_barrier
.LBB6_293:                              ;   in Loop: Header=BB6_231 Depth=1
	s_or_b64 exec, exec, s[56:57]
.LBB6_294:                              ;   in Loop: Header=BB6_231 Depth=1
	s_or_b64 exec, exec, s[18:19]
	s_trap 2
	ds_read_b64 v[0:1], v0
	v_min_u32_e32 v45, v45, v28
	s_waitcnt lgkmcnt(0)
	v_cmp_eq_u64_e32 vcc, 0, v[0:1]
	s_cbranch_vccnz .LBB6_302
; %bb.295:                              ;   in Loop: Header=BB6_231 Depth=1
	s_trap 2
	ds_read_b64 v[16:17], v0
	s_waitcnt lgkmcnt(0)
	v_cmp_eq_u64_e32 vcc, 0, v[16:17]
	s_cbranch_vccnz .LBB6_302
; %bb.296:                              ;   in Loop: Header=BB6_231 Depth=1
	s_mov_b64 s[18:19], -1
	s_and_saveexec_b64 s[56:57], s[14:15]
	s_cbranch_execz .LBB6_298
; %bb.297:                              ;   in Loop: Header=BB6_231 Depth=1
	ds_read_b32 v3, v0 offset:720
	s_waitcnt lgkmcnt(0)
	v_and_b32_e32 v3, 15, v3
	v_cmp_eq_u32_e32 vcc, 0, v3
	s_orn2_b64 s[18:19], vcc, exec
.LBB6_298:                              ;   in Loop: Header=BB6_231 Depth=1
	s_or_b64 exec, exec, s[56:57]
	s_and_saveexec_b64 s[56:57], s[16:17]
	s_cbranch_execz .LBB6_300
; %bb.299:                              ;   in Loop: Header=BB6_231 Depth=1
	ds_read_b32 v3, v0 offset:784
	s_waitcnt lgkmcnt(0)
	v_and_b32_e32 v3, 15, v3
	v_cmp_eq_u32_e32 vcc, 0, v3
	s_and_b64 s[58:59], s[18:19], vcc
	s_andn2_b64 s[18:19], s[18:19], exec
	s_and_b64 s[58:59], s[58:59], exec
	s_or_b64 s[18:19], s[18:19], s[58:59]
.LBB6_300:                              ;   in Loop: Header=BB6_231 Depth=1
	s_or_b64 exec, exec, s[56:57]
	v_cmp_eq_u32_e32 vcc, 0, v2
	s_xor_b64 s[18:19], s[18:19], -1
	v_cndmask_b32_e32 v14, 0, v45, vcc
	v_cndmask_b32_e64 v2, 0, 1, s[18:19]
	v_lshlrev_b32_e32 v33, 1, v14
	s_mov_b64 s[58:59], -1
	v_cmp_ne_u32_e32 vcc, 0, v2
	v_mov_b32_e32 v6, 0
	s_cbranch_vccz .LBB6_303
; %bb.301:                              ;   in Loop: Header=BB6_231 Depth=1
	v_mov_b32_e32 v56, v40
	v_mov_b32_e32 v34, v25
	s_and_saveexec_b64 s[18:19], s[58:59]
	s_cbranch_execnz .LBB6_316
	s_branch .LBB6_324
.LBB6_302:                              ;   in Loop: Header=BB6_231 Depth=1
	s_mov_b64 s[18:19], 0
	s_and_saveexec_b64 s[56:57], s[10:11]
	s_cbranch_execnz .LBB6_325
	s_branch .LBB6_343
.LBB6_303:                              ;   in Loop: Header=BB6_231 Depth=1
	v_lshrrev_b32_e32 v3, 11, v14
	v_sub_u32_e32 v2, v3, v25
	v_cmp_lt_i32_e32 vcc, 0, v2
	s_and_saveexec_b64 s[18:19], vcc
	s_cbranch_execz .LBB6_307
; %bb.304:                              ;   in Loop: Header=BB6_231 Depth=1
	buffer_store_dword v46, off, s[0:3], s33 offset:60 ; 4-byte Folded Spill
	s_nop 0
	buffer_store_dword v47, off, s[0:3], s33 offset:64 ; 4-byte Folded Spill
	buffer_store_dword v48, off, s[0:3], s33 offset:68 ; 4-byte Folded Spill
	;; [unrolled: 1-line block ×3, first 2 shown]
	s_trap 2
	buffer_load_dword v6, off, s[0:3], s33 offset:192 ; 4-byte Folded Reload
	buffer_load_dword v7, off, s[0:3], s33 offset:196 ; 4-byte Folded Reload
	ds_read_b64 v[4:5], v0
	v_mov_b32_e32 v60, v14
	s_mov_b64 s[56:57], 0
	s_waitcnt vmcnt(0)
	v_add_co_u32_e32 v34, vcc, v0, v6
	v_addc_co_u32_e32 v35, vcc, v1, v7, vcc
	s_waitcnt lgkmcnt(0)
	v_add_co_u32_e32 v36, vcc, v4, v6
	v_addc_co_u32_e32 v37, vcc, v5, v7, vcc
	v_add_co_u32_e32 v38, vcc, v16, v6
	v_addc_co_u32_e32 v39, vcc, v17, v7, vcc
.LBB6_305:                              ;   Parent Loop BB6_231 Depth=1
                                        ; =>  This Inner Loop Header: Depth=2
	global_load_dwordx4 v[4:7], v[36:37], off glc slc
	global_load_dwordx4 v[8:11], v[34:35], off glc slc
	global_load_dwordx4 v[12:15], v[34:35], off offset:1024 glc slc
	global_load_dwordx4 v[56:59], v[36:37], off offset:1024 glc slc
	;; [unrolled: 1-line block ×6, first 2 shown]
	v_add_co_u32_e32 v34, vcc, v34, v62
	v_addc_co_u32_e32 v35, vcc, 0, v35, vcc
	v_add_co_u32_e32 v36, vcc, v36, v62
	v_addc_co_u32_e32 v37, vcc, 0, v37, vcc
	v_sub_u32_e32 v2, v2, v55
	v_cmp_gt_i32_e32 vcc, 1, v2
	s_or_b64 s[56:57], vcc, s[56:57]
	s_waitcnt vmcnt(6)
	v_add_f16_e32 v44, v8, v4
	v_add_f16_sdwa v4, v8, v4 dst_sel:WORD_1 dst_unused:UNUSED_PAD src0_sel:WORD_1 src1_sel:WORD_1
	v_add_f16_e32 v8, v9, v5
	v_add_f16_sdwa v5, v9, v5 dst_sel:WORD_1 dst_unused:UNUSED_PAD src0_sel:WORD_1 src1_sel:WORD_1
	v_add_f16_e32 v9, v10, v6
	v_add_f16_sdwa v6, v10, v6 dst_sel:WORD_1 dst_unused:UNUSED_PAD src0_sel:WORD_1 src1_sel:WORD_1
	v_add_f16_e32 v10, v11, v7
	v_add_f16_sdwa v7, v11, v7 dst_sel:WORD_1 dst_unused:UNUSED_PAD src0_sel:WORD_1 src1_sel:WORD_1
	s_waitcnt vmcnt(4)
	v_add_f16_e32 v11, v12, v56
	v_add_f16_sdwa v12, v12, v56 dst_sel:WORD_1 dst_unused:UNUSED_PAD src0_sel:WORD_1 src1_sel:WORD_1
	v_add_f16_e32 v56, v13, v57
	v_add_f16_sdwa v13, v13, v57 dst_sel:WORD_1 dst_unused:UNUSED_PAD src0_sel:WORD_1 src1_sel:WORD_1
	v_add_f16_e32 v57, v14, v58
	v_add_f16_sdwa v14, v14, v58 dst_sel:WORD_1 dst_unused:UNUSED_PAD src0_sel:WORD_1 src1_sel:WORD_1
	v_add_f16_e32 v58, v15, v59
	v_add_f16_sdwa v15, v15, v59 dst_sel:WORD_1 dst_unused:UNUSED_PAD src0_sel:WORD_1 src1_sel:WORD_1
	;; [unrolled: 9-line block ×4, first 2 shown]
	v_or_b32_e32 v5, v5, v8
	v_or_b32_e32 v4, v4, v44
	;; [unrolled: 1-line block ×16, first 2 shown]
	global_store_dwordx4 v[38:39], v[4:7], off glc slc
	global_store_dwordx4 v[38:39], v[8:11], off offset:1024 glc slc
	global_store_dwordx4 v[38:39], v[12:15], off offset:2048 glc slc
	;; [unrolled: 1-line block ×3, first 2 shown]
	v_add_co_u32_e32 v38, vcc, v38, v62
	v_addc_co_u32_e32 v39, vcc, 0, v39, vcc
	s_andn2_b64 exec, exec, s[56:57]
	s_cbranch_execnz .LBB6_305
; %bb.306:                              ;   in Loop: Header=BB6_231 Depth=1
	s_or_b64 exec, exec, s[56:57]
	buffer_load_dword v40, off, s[0:3], s33 offset:128 ; 4-byte Folded Reload
	buffer_load_dword v41, off, s[0:3], s33 offset:100 ; 4-byte Folded Reload
	;; [unrolled: 1-line block ×16, first 2 shown]
	v_mov_b32_e32 v14, v60
.LBB6_307:                              ;   in Loop: Header=BB6_231 Depth=1
	s_or_b64 exec, exec, s[18:19]
	v_lshlrev_b32_e32 v3, 12, v3
	v_cmp_ne_u32_e32 vcc, v33, v3
	s_mov_b64 s[58:59], 0
	v_mov_b32_e32 v6, 0
                                        ; implicit-def: $vgpr56
                                        ; implicit-def: $vgpr34
	s_and_saveexec_b64 s[56:57], vcc
	s_cbranch_execz .LBB6_315
; %bb.308:                              ;   in Loop: Header=BB6_231 Depth=1
	buffer_load_dword v5, off, s[0:3], s33 offset:188 ; 4-byte Folded Reload
	v_lshlrev_b32_e32 v2, 6, v2
	v_sub_u32_e32 v4, v33, v3
	s_waitcnt vmcnt(0)
	v_mov_b32_e32 v60, v49
	v_mov_b32_e32 v59, v48
	;; [unrolled: 1-line block ×4, first 2 shown]
	v_sub_u32_e32 v2, v5, v2
	v_ashrrev_i32_e32 v5, 31, v2
	v_lshrrev_b32_e32 v5, 26, v5
	v_add_u32_e32 v5, v2, v5
	v_ashrrev_i32_e32 v6, 6, v5
	v_and_b32_e32 v5, 0xffffffc0, v5
	v_sub_u32_e32 v2, v2, v5
	v_lshlrev_b32_e32 v5, 4, v2
	v_lshl_add_u32 v34, v6, 10, v5
	v_ashrrev_i32_e32 v5, 31, v4
	v_lshrrev_b32_e32 v5, 22, v5
	v_add_u32_e32 v5, v4, v5
	v_and_b32_e32 v31, 0xfffffc00, v5
	v_sub_u32_e32 v44, v4, v31
	v_ashrrev_i32_e32 v7, 10, v5
	v_cmp_lt_i32_e32 vcc, 15, v44
	v_sub_u32_e32 v47, v4, v34
	v_addc_co_u32_e64 v4, s[18:19], 0, v7, vcc
	v_sub_u32_e32 v52, v4, v6
	v_cmp_lt_i32_e64 s[18:19], 15, v47
	s_and_saveexec_b64 s[58:59], s[18:19]
	s_cbranch_execz .LBB6_312
; %bb.309:                              ;   in Loop: Header=BB6_231 Depth=1
	s_trap 2
	ds_read_b64 v[4:5], v0
	v_add_u32_e32 v6, v34, v3
	v_ashrrev_i32_e32 v7, 31, v6
	v_add_co_u32_e64 v34, s[18:19], v6, v0
	v_addc_co_u32_e64 v35, s[18:19], v7, v1, s[18:19]
	s_waitcnt lgkmcnt(0)
	v_add_co_u32_e64 v36, s[18:19], v4, v6
	v_addc_co_u32_e64 v37, s[18:19], v5, v7, s[18:19]
	v_add_co_u32_e64 v38, s[18:19], v6, v16
	v_addc_co_u32_e64 v39, s[18:19], v7, v17, s[18:19]
	s_mov_b64 s[60:61], 0
	v_lshlrev_b32_e32 v13, 10, v55
.LBB6_310:                              ;   Parent Loop BB6_231 Depth=1
                                        ; =>  This Inner Loop Header: Depth=2
	global_load_dwordx4 v[4:7], v[34:35], off glc slc
	global_load_dwordx4 v[8:11], v[36:37], off glc slc
	v_add_co_u32_e64 v34, s[18:19], v34, v13
	v_addc_co_u32_e64 v35, s[18:19], 0, v35, s[18:19]
	v_add_co_u32_e64 v36, s[18:19], v36, v13
	v_addc_co_u32_e64 v37, s[18:19], 0, v37, s[18:19]
	v_sub_u32_e32 v47, v47, v13
	v_cmp_gt_i32_e64 s[18:19], 16, v47
	s_or_b64 s[60:61], s[18:19], s[60:61]
	v_sub_u32_e32 v52, v52, v55
	s_waitcnt vmcnt(0)
	v_add_f16_e32 v12, v4, v8
	v_add_f16_sdwa v4, v4, v8 dst_sel:WORD_1 dst_unused:UNUSED_PAD src0_sel:WORD_1 src1_sel:WORD_1
	v_add_f16_e32 v8, v5, v9
	v_add_f16_sdwa v5, v5, v9 dst_sel:WORD_1 dst_unused:UNUSED_PAD src0_sel:WORD_1 src1_sel:WORD_1
	;; [unrolled: 2-line block ×4, first 2 shown]
	v_or_b32_e32 v5, v5, v8
	v_or_b32_e32 v4, v4, v12
	;; [unrolled: 1-line block ×4, first 2 shown]
	global_store_dwordx4 v[38:39], v[4:7], off glc slc
	v_add_co_u32_e64 v38, s[18:19], v38, v13
	v_addc_co_u32_e64 v39, s[18:19], 0, v39, s[18:19]
	s_andn2_b64 exec, exec, s[60:61]
	s_cbranch_execnz .LBB6_310
; %bb.311:                              ;   in Loop: Header=BB6_231 Depth=1
	s_or_b64 exec, exec, s[60:61]
	buffer_load_dword v10, off, s[0:3], s33 offset:76 ; 4-byte Folded Reload
	buffer_load_dword v11, off, s[0:3], s33 offset:80 ; 4-byte Folded Reload
	buffer_load_dword v12, off, s[0:3], s33 offset:92 ; 4-byte Folded Reload
	buffer_load_dword v13, off, s[0:3], s33 offset:96 ; 4-byte Folded Reload
.LBB6_312:                              ;   in Loop: Header=BB6_231 Depth=1
	s_or_b64 exec, exec, s[58:59]
	v_and_b32_e32 v35, 14, v33
	v_cndmask_b32_e32 v33, v44, v35, vcc
	v_mov_b32_e32 v6, 0
	s_mov_b64 s[58:59], 0
	v_cmp_ne_u32_e64 s[18:19], 0, v33
                                        ; implicit-def: $vgpr56
                                        ; implicit-def: $vgpr34
	s_mov_b64 s[60:61], exec
	v_mov_b32_e32 v46, v57
	s_and_b64 s[18:19], s[60:61], s[18:19]
	v_mov_b32_e32 v47, v58
	v_mov_b32_e32 v48, v59
	;; [unrolled: 1-line block ×3, first 2 shown]
	s_mov_b64 exec, s[18:19]
	s_cbranch_execz .LBB6_314
; %bb.313:                              ;   in Loop: Header=BB6_231 Depth=1
	v_sub_u32_e32 v4, v44, v35
	v_cndmask_b32_e32 v4, 0, v4, vcc
	v_cmp_lt_i32_e32 vcc, 0, v52
	v_add3_u32 v6, v31, v3, v4
	v_cndmask_b32_e32 v3, 0, v55, vcc
	v_sub_u32_e32 v3, v3, v52
	v_lshl_add_u32 v56, v3, 6, v2
	v_ashrrev_i32_e32 v2, 31, v56
	v_lshrrev_b32_e32 v2, 26, v2
	v_add_u32_e32 v2, v56, v2
	s_mov_b64 s[58:59], exec
	v_ashrrev_i32_e32 v34, 6, v2
.LBB6_314:                              ;   in Loop: Header=BB6_231 Depth=1
	s_or_b64 exec, exec, s[60:61]
	buffer_load_dword v41, off, s[0:3], s33 offset:100 ; 4-byte Folded Reload
	buffer_load_dword v42, off, s[0:3], s33 offset:104 ; 4-byte Folded Reload
	;; [unrolled: 1-line block ×5, first 2 shown]
	s_and_b64 s[58:59], s[58:59], exec
.LBB6_315:                              ;   in Loop: Header=BB6_231 Depth=1
	s_or_b64 exec, exec, s[56:57]
	s_and_saveexec_b64 s[18:19], s[58:59]
	s_cbranch_execz .LBB6_324
.LBB6_316:                              ;   in Loop: Header=BB6_231 Depth=1
	v_ashrrev_i32_e32 v2, 31, v33
	v_lshrrev_b32_e32 v2, 21, v2
	v_add_u32_e32 v2, v33, v2
	v_ashrrev_i32_e32 v2, 11, v2
	v_sub_u32_e32 v57, v2, v34
	v_ashrrev_i32_e32 v3, 31, v56
	v_cmp_lt_i32_e32 vcc, 0, v57
	v_lshrrev_b32_e32 v3, 26, v3
	s_and_saveexec_b64 s[56:57], vcc
	s_cbranch_execz .LBB6_320
; %bb.317:                              ;   in Loop: Header=BB6_231 Depth=1
	buffer_store_dword v2, off, s[0:3], s33 offset:172 ; 4-byte Folded Spill
	buffer_store_dword v14, off, s[0:3], s33 offset:152 ; 4-byte Folded Spill
	;; [unrolled: 1-line block ×3, first 2 shown]
	s_nop 0
	buffer_store_dword v61, off, s[0:3], s33 offset:88 ; 4-byte Folded Spill
	s_waitcnt vmcnt(0)
	buffer_store_dword v46, off, s[0:3], s33 offset:60 ; 4-byte Folded Spill
	s_nop 0
	buffer_store_dword v47, off, s[0:3], s33 offset:64 ; 4-byte Folded Spill
	buffer_store_dword v48, off, s[0:3], s33 offset:68 ; 4-byte Folded Spill
	;; [unrolled: 1-line block ×4, first 2 shown]
	v_add_u32_e32 v3, v56, v3
	v_and_b32_e32 v3, 0x7fffffc0, v3
	v_sub_u32_e32 v3, v56, v3
	v_lshlrev_b32_e32 v3, 1, v3
	v_lshlrev_b32_e32 v4, 11, v34
	buffer_store_dword v6, off, s[0:3], s33 offset:160 ; 4-byte Folded Spill
	v_add3_u32 v5, v3, v6, v4
	s_trap 2
	ds_read_b64 v[3:4], v0
	v_ashrrev_i32_e32 v6, 31, v5
	v_add_co_u32_e32 v34, vcc, v5, v0
	v_addc_co_u32_e32 v35, vcc, v6, v1, vcc
	s_waitcnt lgkmcnt(0)
	v_add_co_u32_e32 v36, vcc, v3, v5
	v_addc_co_u32_e32 v37, vcc, v4, v6, vcc
	v_add_co_u32_e32 v3, vcc, 0x780, v16
	v_addc_co_u32_e32 v4, vcc, 0, v17, vcc
	;; [unrolled: 2-line block ×3, first 2 shown]
	s_mov_b64 s[58:59], 0
.LBB6_318:                              ;   Parent Loop BB6_231 Depth=1
                                        ; =>  This Inner Loop Header: Depth=2
	flat_load_ushort v3, v[34:35] glc slc
	flat_load_ushort v4, v[34:35] offset:128 glc slc
	flat_load_ushort v5, v[34:35] offset:256 glc slc
	;; [unrolled: 1-line block ×15, first 2 shown]
	flat_load_ushort v31, v[36:37] glc slc
	flat_load_ushort v48, v[36:37] offset:128 glc slc
	flat_load_ushort v49, v[36:37] offset:256 glc slc
	;; [unrolled: 1-line block ×15, first 2 shown]
	v_sub_u32_e32 v57, v57, v55
	s_waitcnt vmcnt(0) lgkmcnt(0)
	v_add_f16_e32 v25, v3, v31
	v_add_f16_e32 v48, v4, v48
	v_add_co_u32_e32 v4, vcc, s31, v38
	v_add_f16_e32 v49, v5, v49
	v_addc_co_u32_e32 v5, vcc, -1, v39, vcc
	flat_store_short v[4:5], v25 glc slc
	v_add_co_u32_e32 v4, vcc, s34, v38
	v_addc_co_u32_e32 v5, vcc, -1, v39, vcc
	flat_store_short v[4:5], v48 glc slc
	v_add_co_u32_e32 v4, vcc, s35, v38
	;; [unrolled: 3-line block ×3, first 2 shown]
	v_add_f16_e32 v6, v6, v50
	v_addc_co_u32_e32 v5, vcc, -1, v39, vcc
	flat_store_short v[4:5], v6 glc slc
	v_add_co_u32_e32 v4, vcc, s37, v38
	v_add_f16_e32 v7, v7, v51
	v_addc_co_u32_e32 v5, vcc, -1, v39, vcc
	flat_store_short v[4:5], v7 glc slc
	v_add_co_u32_e32 v4, vcc, s38, v38
	;; [unrolled: 4-line block ×11, first 2 shown]
	v_lshlrev_b32_e32 v11, 11, v55
	v_addc_co_u32_e32 v5, vcc, -1, v39, vcc
	v_add_co_u32_e32 v34, vcc, v34, v11
	v_addc_co_u32_e32 v35, vcc, 0, v35, vcc
	v_add_co_u32_e32 v36, vcc, v36, v11
	v_add_f16_e32 v3, v30, v2
	v_addc_co_u32_e32 v37, vcc, 0, v37, vcc
	v_add_f16_e32 v59, v32, v47
	flat_store_short v[4:5], v3 glc slc
	flat_store_short v[38:39], v59 glc slc
	v_add_co_u32_e32 v38, vcc, v38, v11
	v_addc_co_u32_e32 v39, vcc, 0, v39, vcc
	v_cmp_gt_i32_e32 vcc, 1, v57
	s_or_b64 s[58:59], vcc, s[58:59]
	s_andn2_b64 exec, exec, s[58:59]
	s_cbranch_execnz .LBB6_318
; %bb.319:                              ;   in Loop: Header=BB6_231 Depth=1
	s_or_b64 exec, exec, s[58:59]
	buffer_load_dword v40, off, s[0:3], s33 offset:128 ; 4-byte Folded Reload
	buffer_load_dword v41, off, s[0:3], s33 offset:100 ; 4-byte Folded Reload
	;; [unrolled: 1-line block ×23, first 2 shown]
	v_lshlrev_b32_e32 v62, 12, v55
.LBB6_320:                              ;   in Loop: Header=BB6_231 Depth=1
	s_or_b64 exec, exec, s[56:57]
	s_waitcnt vmcnt(0)
	v_lshlrev_b32_e32 v2, 11, v2
	v_cmp_ne_u32_e32 vcc, v33, v2
	s_and_b64 exec, exec, vcc
	s_cbranch_execz .LBB6_324
; %bb.321:                              ;   in Loop: Header=BB6_231 Depth=1
	v_add_u32_e32 v3, v56, v3
	v_and_b32_e32 v3, 0xffffffc0, v3
	v_sub_u32_e32 v3, v56, v3
	v_lshlrev_b32_e32 v4, 6, v57
	v_sub_u32_e32 v3, v3, v4
	v_ashrrev_i32_e32 v4, 31, v3
	v_lshrrev_b32_e32 v4, 26, v4
	v_add_u32_e32 v4, v3, v4
	v_and_b32_e32 v5, 0x7fffffc0, v4
	v_sub_u32_e32 v3, v3, v5
	v_lshlrev_b32_e32 v4, 1, v4
	v_and_b32_e32 v4, 0xffffff80, v4
	v_lshlrev_b32_e32 v3, 1, v3
	v_add3_u32 v3, v4, v3, v2
	v_sub_u32_e32 v2, v33, v3
	v_cmp_lt_i32_e32 vcc, 1, v2
	s_and_b64 exec, exec, vcc
	s_cbranch_execz .LBB6_324
; %bb.322:                              ;   in Loop: Header=BB6_231 Depth=1
	v_add_u32_e32 v5, v3, v6
	s_trap 2
	ds_read_b64 v[3:4], v0
	v_ashrrev_i32_e32 v6, 31, v5
	v_add_co_u32_e32 v29, vcc, v5, v0
	v_addc_co_u32_e32 v30, vcc, v6, v1, vcc
	s_waitcnt lgkmcnt(0)
	v_add_co_u32_e32 v34, vcc, v3, v5
	v_addc_co_u32_e32 v35, vcc, v4, v6, vcc
	v_add_co_u32_e32 v32, vcc, v5, v16
	v_addc_co_u32_e32 v33, vcc, v6, v17, vcc
	s_mov_b64 s[56:57], 0
.LBB6_323:                              ;   Parent Loop BB6_231 Depth=1
                                        ; =>  This Inner Loop Header: Depth=2
	flat_load_ushort v0, v[29:30] glc slc
	flat_load_ushort v1, v[34:35] glc slc
	v_add_co_u32_e32 v29, vcc, v29, v24
	v_addc_co_u32_e32 v30, vcc, 0, v30, vcc
	v_add_co_u32_e32 v34, vcc, v34, v24
	v_addc_co_u32_e32 v35, vcc, 0, v35, vcc
	v_sub_u32_e32 v2, v2, v24
	v_cmp_gt_i32_e32 vcc, 2, v2
	s_or_b64 s[56:57], vcc, s[56:57]
	s_waitcnt vmcnt(0) lgkmcnt(0)
	v_add_f16_e32 v0, v0, v1
	flat_store_short v[32:33], v0 glc slc
	v_add_co_u32_e32 v32, vcc, v32, v24
	v_addc_co_u32_e32 v33, vcc, 0, v33, vcc
	s_andn2_b64 exec, exec, s[56:57]
	s_cbranch_execnz .LBB6_323
.LBB6_324:                              ;   in Loop: Header=BB6_231 Depth=1
	s_or_b64 exec, exec, s[18:19]
	v_cmp_ne_u32_e64 s[18:19], 0, v14
	s_and_saveexec_b64 s[56:57], s[10:11]
	s_cbranch_execz .LBB6_343
.LBB6_325:                              ;   in Loop: Header=BB6_231 Depth=1
	s_and_saveexec_b64 s[58:59], s[28:29]
	s_xor_b64 s[58:59], exec, s[58:59]
	s_cbranch_execz .LBB6_340
; %bb.326:                              ;   in Loop: Header=BB6_231 Depth=1
	s_and_saveexec_b64 s[60:61], s[12:13]
	s_cbranch_execz .LBB6_339
; %bb.327:                              ;   in Loop: Header=BB6_231 Depth=1
	s_mov_b64 s[72:73], exec
	v_mbcnt_lo_u32_b32 v0, s72, 0
	v_mbcnt_hi_u32_b32 v0, s73, v0
	v_cmp_eq_u32_e32 vcc, 0, v0
	s_waitcnt vmcnt(0) lgkmcnt(0)
	buffer_wbinvl1_vol
	s_and_saveexec_b64 s[62:63], vcc
	s_cbranch_execz .LBB6_329
; %bb.328:                              ;   in Loop: Header=BB6_231 Depth=1
	s_bcnt1_i32_b64 s72, s[72:73]
	v_mov_b32_e32 v60, s72
	ds_add_u64 v0, v[60:61]
	s_trap 2
.LBB6_329:                              ;   in Loop: Header=BB6_231 Depth=1
	s_or_b64 exec, exec, s[62:63]
	s_trap 2
	ds_read_b64 v[0:1], v0
	s_waitcnt lgkmcnt(0)
	v_add_co_u32_e32 v20, vcc, v20, v55
	v_addc_co_u32_e32 v21, vcc, 0, v21, vcc
	v_cmp_lt_u64_e32 vcc, v[0:1], v[20:21]
	s_and_saveexec_b64 s[62:63], vcc
	s_cbranch_execz .LBB6_338
; %bb.330:                              ;   in Loop: Header=BB6_231 Depth=1
	s_mov_b32 s92, 0
	s_mov_b64 s[72:73], 0
                                        ; implicit-def: $sgpr74_sgpr75
                                        ; implicit-def: $sgpr76_sgpr77
	s_branch .LBB6_332
.LBB6_331:                              ;   in Loop: Header=BB6_332 Depth=2
	s_or_b64 exec, exec, s[88:89]
	s_and_b64 s[78:79], exec, s[90:91]
	s_or_b64 s[72:73], s[78:79], s[72:73]
	s_andn2_b64 s[74:75], s[74:75], exec
	s_and_b64 s[78:79], s[76:77], exec
	s_or_b64 s[74:75], s[74:75], s[78:79]
	s_andn2_b64 exec, exec, s[72:73]
	s_cbranch_execz .LBB6_336
.LBB6_332:                              ;   Parent Loop BB6_231 Depth=1
                                        ; =>  This Inner Loop Header: Depth=2
	s_add_i32 s92, s92, 1
	s_cmpk_lg_i32 s92, 0x2710
	s_cselect_b64 s[78:79], -1, 0
	s_and_b64 vcc, exec, s[78:79]
	s_cbranch_vccz .LBB6_334
; %bb.333:                              ;   in Loop: Header=BB6_332 Depth=2
	s_mov_b64 s[90:91], -1
	s_or_b64 s[76:77], s[76:77], exec
	s_and_saveexec_b64 s[88:89], s[78:79]
	s_cbranch_execz .LBB6_331
	s_branch .LBB6_335
.LBB6_334:                              ;   in Loop: Header=BB6_332 Depth=2
	s_trap 2
	ds_read_b64 v[0:1], v0
	s_andn2_b64 s[78:79], s[78:79], exec
	s_mov_b32 s92, 0
	s_waitcnt lgkmcnt(0)
	flat_load_dword v0, v[0:1] glc
	s_waitcnt vmcnt(0) lgkmcnt(0)
	buffer_wbinvl1_vol
	v_cmp_eq_u32_e32 vcc, 0, v0
	s_and_b64 s[88:89], vcc, exec
	s_or_b64 s[78:79], s[78:79], s[88:89]
	s_mov_b64 s[90:91], -1
	s_or_b64 s[76:77], s[76:77], exec
	s_and_saveexec_b64 s[88:89], s[78:79]
	s_cbranch_execz .LBB6_331
.LBB6_335:                              ;   in Loop: Header=BB6_332 Depth=2
	s_sleep 1
	s_trap 2
	ds_read_b64 v[0:1], v0
	s_waitcnt lgkmcnt(0)
	s_andn2_b64 s[76:77], s[76:77], exec
	v_cmp_ge_u64_e32 vcc, v[0:1], v[20:21]
	s_orn2_b64 s[90:91], vcc, exec
	s_branch .LBB6_331
.LBB6_336:                              ;   in Loop: Header=BB6_231 Depth=1
	s_or_b64 exec, exec, s[72:73]
	s_and_saveexec_b64 s[72:73], s[74:75]
	s_xor_b64 s[72:73], exec, s[72:73]
	s_cbranch_execz .LBB6_338
; %bb.337:                              ;   in Loop: Header=BB6_231 Depth=1
	v_mov_b32_e32 v0, 1
	ds_write_b32 v0, v0
	s_trap 2
.LBB6_338:                              ;   in Loop: Header=BB6_231 Depth=1
	s_or_b64 exec, exec, s[62:63]
	;;#ASMSTART
	s_wakeup
	;;#ASMEND
.LBB6_339:                              ;   in Loop: Header=BB6_231 Depth=1
	s_or_b64 exec, exec, s[60:61]
.LBB6_340:                              ;   in Loop: Header=BB6_231 Depth=1
	s_andn2_saveexec_b64 s[58:59], s[58:59]
	s_cbranch_execz .LBB6_342
; %bb.341:                              ;   in Loop: Header=BB6_231 Depth=1
	s_waitcnt vmcnt(0) lgkmcnt(0)
	buffer_wbinvl1_vol
	s_barrier
.LBB6_342:                              ;   in Loop: Header=BB6_231 Depth=1
	s_or_b64 exec, exec, s[58:59]
.LBB6_343:                              ;   in Loop: Header=BB6_231 Depth=1
	s_or_b64 exec, exec, s[56:57]
	v_and_b32_e32 v0, 16, v54
	v_cmp_ne_u32_e32 vcc, 0, v0
	s_and_b64 s[56:57], vcc, s[18:19]
	s_and_saveexec_b64 s[18:19], s[56:57]
	s_cbranch_execz .LBB6_345
; %bb.344:                              ;   in Loop: Header=BB6_231 Depth=1
	s_waitcnt vmcnt(0) lgkmcnt(0)
	buffer_wbinvl1_vol
.LBB6_345:                              ;   in Loop: Header=BB6_231 Depth=1
	s_or_b64 exec, exec, s[18:19]
	v_and_b32_e32 v0, 32, v54
	v_cmp_ne_u32_e32 vcc, 0, v0
	s_and_saveexec_b64 s[18:19], vcc
	s_cbranch_execz .LBB6_347
; %bb.346:                              ;   in Loop: Header=BB6_231 Depth=1
	s_waitcnt vmcnt(0)
	v_add_co_u32_e32 v48, vcc, 1, v48
	v_addc_co_u32_e32 v49, vcc, 0, v49, vcc
	flat_store_dwordx2 v[18:19], v[48:49]
.LBB6_347:                              ;   in Loop: Header=BB6_231 Depth=1
	s_or_b64 exec, exec, s[18:19]
	v_mov_b32_e32 v2, v45
.LBB6_348:                              ;   in Loop: Header=BB6_231 Depth=1
	s_or_b64 exec, exec, s[46:47]
	s_and_saveexec_b64 s[46:47], s[44:45]
	s_cbranch_execz .LBB6_230
; %bb.349:                              ;   in Loop: Header=BB6_231 Depth=1
	v_and_b32_e32 v0, 4, v54
	v_cmp_ne_u32_e32 vcc, 0, v0
	s_and_saveexec_b64 s[44:45], vcc
	s_cbranch_execz .LBB6_371
; %bb.350:                              ;   in Loop: Header=BB6_231 Depth=1
	s_waitcnt vmcnt(0) lgkmcnt(0)
	v_add_co_u32_e32 v29, vcc, 1, v48
	v_addc_co_u32_e32 v30, vcc, 0, v49, vcc
	v_cmp_lt_u64_e32 vcc, v[22:23], v[29:30]
	s_and_saveexec_b64 s[56:57], vcc
	s_cbranch_execz .LBB6_362
; %bb.351:                              ;   in Loop: Header=BB6_231 Depth=1
	v_and_b32_e32 v0, 64, v54
	s_mov_b32 s92, 0
	v_cmp_eq_u32_e32 vcc, 0, v0
	s_mov_b64 s[58:59], 0
                                        ; implicit-def: $sgpr60_sgpr61
                                        ; implicit-def: $sgpr62_sgpr63
                                        ; implicit-def: $sgpr72_sgpr73
	s_branch .LBB6_355
.LBB6_352:                              ;   in Loop: Header=BB6_355 Depth=2
	s_waitcnt vmcnt(0) lgkmcnt(0)
	v_cmp_ge_u64_e64 s[18:19], v[22:23], v[29:30]
	s_or_b64 s[78:79], s[78:79], exec
	s_orn2_b64 s[76:77], s[18:19], exec
.LBB6_353:                              ;   in Loop: Header=BB6_355 Depth=2
	s_or_b64 exec, exec, s[90:91]
	s_andn2_b64 s[18:19], s[72:73], exec
	s_and_b64 s[72:73], s[78:79], exec
	s_or_b64 s[72:73], s[18:19], s[72:73]
	s_andn2_b64 s[18:19], s[62:63], exec
	s_and_b64 s[62:63], s[76:77], exec
	s_or_b64 s[62:63], s[18:19], s[62:63]
.LBB6_354:                              ;   in Loop: Header=BB6_355 Depth=2
	s_or_b64 exec, exec, s[74:75]
	s_and_b64 s[18:19], exec, s[62:63]
	s_or_b64 s[58:59], s[18:19], s[58:59]
	s_andn2_b64 s[18:19], s[60:61], exec
	s_and_b64 s[60:61], s[72:73], exec
	s_or_b64 s[60:61], s[18:19], s[60:61]
	s_andn2_b64 exec, exec, s[58:59]
	s_cbranch_execz .LBB6_359
.LBB6_355:                              ;   Parent Loop BB6_231 Depth=1
                                        ; =>  This Inner Loop Header: Depth=2
	s_sleep 1
	s_waitcnt vmcnt(0) lgkmcnt(0)
	flat_load_dwordx2 v[22:23], v[18:19] glc
	s_or_b64 s[72:73], s[72:73], exec
	s_or_b64 s[62:63], s[62:63], exec
                                        ; implicit-def: $vgpr3
	s_and_saveexec_b64 s[74:75], vcc
	s_cbranch_execz .LBB6_354
; %bb.356:                              ;   in Loop: Header=BB6_355 Depth=2
	s_cmpk_lt_i32 s92, 0x270f
	s_cselect_b64 s[88:89], -1, 0
	s_cmpk_gt_i32 s92, 0x270e
	s_mov_b64 s[76:77], -1
	s_cbranch_scc0 .LBB6_358
; %bb.357:                              ;   in Loop: Header=BB6_355 Depth=2
	s_trap 2
	ds_read_b64 v[0:1], v0
	s_andn2_b64 s[88:89], s[88:89], exec
	s_mov_b32 s92, 0
	s_mov_b64 s[78:79], 0
	s_waitcnt vmcnt(0) lgkmcnt(0)
	flat_load_dword v3, v[0:1] glc
	s_waitcnt vmcnt(0) lgkmcnt(0)
	buffer_wbinvl1_vol
	v_cmp_eq_u32_e64 s[18:19], 0, v3
	s_and_b64 s[18:19], s[18:19], exec
	s_or_b64 s[88:89], s[88:89], s[18:19]
	s_and_saveexec_b64 s[90:91], s[88:89]
	s_cbranch_execz .LBB6_353
	s_branch .LBB6_352
.LBB6_358:                              ;   in Loop: Header=BB6_355 Depth=2
	s_add_i32 s92, s92, 1
	s_mov_b64 s[78:79], -1
                                        ; implicit-def: $vgpr3
	s_and_saveexec_b64 s[90:91], s[88:89]
	s_cbranch_execz .LBB6_353
	s_branch .LBB6_352
.LBB6_359:                              ;   in Loop: Header=BB6_231 Depth=1
	s_or_b64 exec, exec, s[58:59]
	s_xor_b64 s[18:19], s[60:61], -1
	s_and_saveexec_b64 s[58:59], s[18:19]
	s_xor_b64 s[18:19], exec, s[58:59]
	s_cbranch_execz .LBB6_361
; %bb.360:                              ;   in Loop: Header=BB6_231 Depth=1
	v_or_b32_e32 v54, 64, v54
	s_waitcnt lgkmcnt(0)
	ds_write_b32 v0, v3
	s_trap 2
.LBB6_361:                              ;   in Loop: Header=BB6_231 Depth=1
	s_or_b64 exec, exec, s[18:19]
.LBB6_362:                              ;   in Loop: Header=BB6_231 Depth=1
	s_or_b64 exec, exec, s[56:57]
	v_and_b32_e32 v0, 0x100, v54
	v_cmp_ne_u32_e32 vcc, 0, v0
	v_and_b32_e32 v3, 7, v48
	s_mov_b64 s[18:19], -1
	;;#ASMSTART
	s_wakeup
	;;#ASMEND
                                        ; implicit-def: $vgpr8_vgpr9
	s_and_saveexec_b64 s[56:57], vcc
	s_cbranch_execz .LBB6_366
; %bb.363:                              ;   in Loop: Header=BB6_231 Depth=1
	v_mad_u64_u32 v[32:33], s[18:19], v3, 24, v[46:47]
                                        ; implicit-def: $vgpr8_vgpr9
	flat_load_dword v0, v[32:33]
	s_waitcnt vmcnt(0) lgkmcnt(0)
	v_cmp_ne_u32_e32 vcc, 1, v0
	v_cmp_eq_u32_e64 s[18:19], 1, v0
	s_and_saveexec_b64 s[58:59], s[18:19]
	s_cbranch_execz .LBB6_365
; %bb.364:                              ;   in Loop: Header=BB6_231 Depth=1
	flat_load_dword v0, v[32:33] offset:4 glc
	s_waitcnt vmcnt(0) lgkmcnt(0)
	v_ashrrev_i32_e32 v1, 31, v0
	v_lshrrev_b64 v[8:9], 1, v[0:1]
.LBB6_365:                              ;   in Loop: Header=BB6_231 Depth=1
	s_or_b64 exec, exec, s[58:59]
	s_orn2_b64 s[18:19], vcc, exec
.LBB6_366:                              ;   in Loop: Header=BB6_231 Depth=1
	s_or_b64 exec, exec, s[56:57]
	s_and_saveexec_b64 s[56:57], s[18:19]
; %bb.367:                              ;   in Loop: Header=BB6_231 Depth=1
	v_mad_i64_i32 v[8:9], s[18:19], v3, v59, 0
; %bb.368:                              ;   in Loop: Header=BB6_231 Depth=1
	s_or_b64 exec, exec, s[56:57]
	v_lshlrev_b64 v[0:1], 1, v[8:9]
	v_add_co_u32_e32 v0, vcc, v10, v0
	v_addc_co_u32_e32 v1, vcc, v11, v1, vcc
	ds_write_b64 v0, v[0:1] offset:728
	v_and_b32_e32 v0, 0x2000, v54
	v_cmp_ne_u32_e32 vcc, 0, v0
	s_and_saveexec_b64 s[18:19], vcc
	s_cbranch_execz .LBB6_370
; %bb.369:                              ;   in Loop: Header=BB6_231 Depth=1
	ds_read_b64 v[0:1], v0 offset:872
	s_waitcnt lgkmcnt(0)
	v_add_co_u32_e32 v0, vcc, 1, v0
	v_addc_co_u32_e32 v1, vcc, 0, v1, vcc
	ds_write_b64 v0, v[0:1] offset:872
.LBB6_370:                              ;   in Loop: Header=BB6_231 Depth=1
	s_or_b64 exec, exec, s[18:19]
	v_mov_b32_e32 v49, v30
	v_mov_b32_e32 v48, v29
.LBB6_371:                              ;   in Loop: Header=BB6_231 Depth=1
	s_or_b64 exec, exec, s[44:45]
	s_and_saveexec_b64 s[18:19], s[10:11]
	s_cbranch_execz .LBB6_390
; %bb.372:                              ;   in Loop: Header=BB6_231 Depth=1
	s_and_saveexec_b64 s[44:45], s[28:29]
	s_xor_b64 s[44:45], exec, s[44:45]
	s_cbranch_execz .LBB6_387
; %bb.373:                              ;   in Loop: Header=BB6_231 Depth=1
	s_and_saveexec_b64 s[56:57], s[12:13]
	s_cbranch_execz .LBB6_386
; %bb.374:                              ;   in Loop: Header=BB6_231 Depth=1
	s_mov_b64 s[60:61], exec
	v_mbcnt_lo_u32_b32 v0, s60, 0
	v_mbcnt_hi_u32_b32 v0, s61, v0
	v_cmp_eq_u32_e32 vcc, 0, v0
	s_waitcnt vmcnt(0) lgkmcnt(0)
	buffer_wbinvl1_vol
	s_and_saveexec_b64 s[58:59], vcc
	s_cbranch_execz .LBB6_376
; %bb.375:                              ;   in Loop: Header=BB6_231 Depth=1
	s_bcnt1_i32_b64 s60, s[60:61]
	v_mov_b32_e32 v60, s60
	ds_add_u64 v0, v[60:61]
	s_trap 2
.LBB6_376:                              ;   in Loop: Header=BB6_231 Depth=1
	s_or_b64 exec, exec, s[58:59]
	s_trap 2
	ds_read_b64 v[0:1], v0
	s_waitcnt lgkmcnt(0)
	v_add_co_u32_e32 v20, vcc, v20, v55
	v_addc_co_u32_e32 v21, vcc, 0, v21, vcc
	v_cmp_lt_u64_e32 vcc, v[0:1], v[20:21]
	s_and_saveexec_b64 s[58:59], vcc
	s_cbranch_execz .LBB6_385
; %bb.377:                              ;   in Loop: Header=BB6_231 Depth=1
	s_mov_b32 s88, 0
	s_mov_b64 s[60:61], 0
                                        ; implicit-def: $sgpr62_sgpr63
                                        ; implicit-def: $sgpr72_sgpr73
	s_branch .LBB6_379
.LBB6_378:                              ;   in Loop: Header=BB6_379 Depth=2
	s_or_b64 exec, exec, s[76:77]
	s_and_b64 s[74:75], exec, s[78:79]
	s_or_b64 s[60:61], s[74:75], s[60:61]
	s_andn2_b64 s[62:63], s[62:63], exec
	s_and_b64 s[74:75], s[72:73], exec
	s_or_b64 s[62:63], s[62:63], s[74:75]
	s_andn2_b64 exec, exec, s[60:61]
	s_cbranch_execz .LBB6_383
.LBB6_379:                              ;   Parent Loop BB6_231 Depth=1
                                        ; =>  This Inner Loop Header: Depth=2
	s_add_i32 s88, s88, 1
	s_cmpk_lg_i32 s88, 0x2710
	s_cselect_b64 s[74:75], -1, 0
	s_and_b64 vcc, exec, s[74:75]
	s_cbranch_vccz .LBB6_381
; %bb.380:                              ;   in Loop: Header=BB6_379 Depth=2
	s_mov_b64 s[78:79], -1
	s_or_b64 s[72:73], s[72:73], exec
	s_and_saveexec_b64 s[76:77], s[74:75]
	s_cbranch_execz .LBB6_378
	s_branch .LBB6_382
.LBB6_381:                              ;   in Loop: Header=BB6_379 Depth=2
	s_trap 2
	ds_read_b64 v[0:1], v0
	s_andn2_b64 s[74:75], s[74:75], exec
	s_mov_b32 s88, 0
	s_waitcnt lgkmcnt(0)
	flat_load_dword v0, v[0:1] glc
	s_waitcnt vmcnt(0) lgkmcnt(0)
	buffer_wbinvl1_vol
	v_cmp_eq_u32_e32 vcc, 0, v0
	s_and_b64 s[76:77], vcc, exec
	s_or_b64 s[74:75], s[74:75], s[76:77]
	s_mov_b64 s[78:79], -1
	s_or_b64 s[72:73], s[72:73], exec
	s_and_saveexec_b64 s[76:77], s[74:75]
	s_cbranch_execz .LBB6_378
.LBB6_382:                              ;   in Loop: Header=BB6_379 Depth=2
	s_sleep 1
	s_trap 2
	ds_read_b64 v[0:1], v0
	s_waitcnt lgkmcnt(0)
	s_andn2_b64 s[72:73], s[72:73], exec
	v_cmp_ge_u64_e32 vcc, v[0:1], v[20:21]
	s_orn2_b64 s[78:79], vcc, exec
	s_branch .LBB6_378
.LBB6_383:                              ;   in Loop: Header=BB6_231 Depth=1
	s_or_b64 exec, exec, s[60:61]
	s_and_saveexec_b64 s[60:61], s[62:63]
	s_xor_b64 s[60:61], exec, s[60:61]
	s_cbranch_execz .LBB6_385
; %bb.384:                              ;   in Loop: Header=BB6_231 Depth=1
	v_mov_b32_e32 v0, 1
	ds_write_b32 v0, v0
	s_trap 2
.LBB6_385:                              ;   in Loop: Header=BB6_231 Depth=1
	s_or_b64 exec, exec, s[58:59]
	;;#ASMSTART
	s_wakeup
	;;#ASMEND
.LBB6_386:                              ;   in Loop: Header=BB6_231 Depth=1
	s_or_b64 exec, exec, s[56:57]
.LBB6_387:                              ;   in Loop: Header=BB6_231 Depth=1
	s_andn2_saveexec_b64 s[44:45], s[44:45]
	s_cbranch_execz .LBB6_389
; %bb.388:                              ;   in Loop: Header=BB6_231 Depth=1
	s_waitcnt vmcnt(0) lgkmcnt(0)
	buffer_wbinvl1_vol
	s_barrier
.LBB6_389:                              ;   in Loop: Header=BB6_231 Depth=1
	s_or_b64 exec, exec, s[44:45]
.LBB6_390:                              ;   in Loop: Header=BB6_231 Depth=1
	s_or_b64 exec, exec, s[18:19]
	s_trap 2
	ds_read_b32 v0, v0
	v_sub_u32_e32 v1, v28, v2
	v_min_i32_e32 v1, v45, v1
	v_cmp_lt_i32_e32 vcc, 0, v1
	s_waitcnt lgkmcnt(0)
	v_readfirstlane_b32 s18, v0
	s_cmp_eq_u32 s18, 0
	s_cselect_b64 s[18:19], -1, 0
	v_and_b32_e32 v0, 16, v54
	s_and_b64 s[18:19], vcc, s[18:19]
	v_cmp_ne_u32_e32 vcc, 0, v0
	s_and_b64 s[44:45], vcc, s[18:19]
	s_and_saveexec_b64 s[18:19], s[44:45]
	s_cbranch_execz .LBB6_392
; %bb.391:                              ;   in Loop: Header=BB6_231 Depth=1
	s_waitcnt vmcnt(0)
	buffer_wbinvl1_vol
.LBB6_392:                              ;   in Loop: Header=BB6_231 Depth=1
	s_or_b64 exec, exec, s[18:19]
	v_and_b32_e32 v0, 32, v54
	v_cmp_ne_u32_e32 vcc, 0, v0
	s_and_saveexec_b64 s[18:19], vcc
	s_cbranch_execz .LBB6_229
; %bb.393:                              ;   in Loop: Header=BB6_231 Depth=1
	s_waitcnt vmcnt(0)
	v_add_co_u32_e32 v48, vcc, 1, v48
	v_addc_co_u32_e32 v49, vcc, 0, v49, vcc
	flat_store_dwordx2 v[18:19], v[48:49]
	s_branch .LBB6_229
.LBB6_394:
	s_or_b64 exec, exec, s[40:41]
	buffer_load_dword v14, off, s[0:3], s33 offset:132 ; 4-byte Folded Reload
	buffer_load_dword v31, off, s[0:3], s33 offset:136 ; 4-byte Folded Reload
	;; [unrolled: 1-line block ×5, first 2 shown]
.LBB6_395:
	s_or_b64 exec, exec, s[26:27]
.LBB6_396:
	s_or_b64 exec, exec, s[20:21]
                                        ; implicit-def: $vgpr50_vgpr51
                                        ; implicit-def: $vgpr41_vgpr42
                                        ; implicit-def: $vgpr6_vgpr7
                                        ; implicit-def: $vgpr59
                                        ; implicit-def: $vgpr22_vgpr23
                                        ; implicit-def: $vgpr10_vgpr11
                                        ; implicit-def: $vgpr18_vgpr19
                                        ; implicit-def: $vgpr40
                                        ; implicit-def: $vgpr36
                                        ; implicit-def: $vgpr12
.LBB6_397:
	s_andn2_saveexec_b64 s[24:25], s[24:25]
	s_cbranch_execz .LBB6_571
; %bb.398:
	v_mov_b32_e32 v20, 0
	v_cmp_ne_u64_e32 vcc, 0, v[41:42]
	v_mov_b32_e32 v21, 0
	s_and_saveexec_b64 s[26:27], vcc
	s_cbranch_execz .LBB6_570
; %bb.399:
	s_waitcnt vmcnt(0)
	v_and_b32_e32 v0, 63, v31
	v_cmp_eq_u32_e64 s[12:13], 0, v0
	v_ashrrev_i32_e32 v0, 31, v40
	v_lshrrev_b32_e32 v0, 26, v0
	v_add_u32_e32 v0, v40, v0
	v_and_b32_e32 v1, 0xffffffc0, v0
	v_ashrrev_i32_e32 v27, 6, v0
	s_lshr_b32 s6, s30, 27
	v_sub_u32_e32 v1, v40, v1
	v_lshlrev_b32_e32 v0, 13, v27
	buffer_store_dword v43, off, s[0:3], s33 offset:144 ; 4-byte Folded Spill
	s_nop 0
	buffer_store_dword v44, off, s[0:3], s33 offset:148 ; 4-byte Folded Spill
	s_add_i32 s30, s30, s6
	v_cmp_eq_u32_e32 vcc, 64, v14
	v_lshrrev_b32_e32 v30, 6, v14
	v_lshl_add_u32 v62, v1, 4, v0
	v_lshlrev_b32_e32 v0, 1, v14
	v_cmp_ne_u64_e64 s[18:19], 0, v[6:7]
	v_mov_b32_e32 v28, 0
	v_mov_b32_e32 v20, 0
	s_ashr_i32 s94, s30, 5
	v_cmp_ge_i32_e64 s[6:7], v40, v14
	s_trap 2
	v_cmp_ne_u32_e64 s[10:11], 64, v14
	buffer_store_dword v15, off, s[0:3], s33 offset:140 ; 4-byte Folded Spill
	v_cmp_ne_u32_sdwa s[28:29], v14, v15 src0_sel:DWORD src1_sel:WORD_0
	v_mov_b32_e32 v15, 0
	v_cmp_gt_i32_e64 s[14:15], 1, v1
	v_cmp_lt_i32_e64 s[16:17], v1, v36
	v_ashrrev_i32_e32 v4, 31, v62
	v_lshlrev_b32_e32 v61, 13, v30
	v_lshlrev_b32_e32 v53, 10, v30
	;; [unrolled: 1-line block ×3, first 2 shown]
	v_and_b32_e32 v43, 0x7f80, v0
	s_mov_b64 s[40:41], 0
	v_mov_b32_e32 v29, 0
	v_mov_b32_e32 v21, 0
	;; [unrolled: 1-line block ×3, first 2 shown]
	s_xor_b64 s[42:43], vcc, -1
	s_movk_i32 s95, 0x1000
	buffer_store_dword v31, off, s[0:3], s33 offset:136 ; 4-byte Folded Spill
	buffer_store_dword v1, off, s[0:3], s33 offset:160 ; 4-byte Folded Spill
	;; [unrolled: 1-line block ×4, first 2 shown]
	s_nop 0
	buffer_store_dword v11, off, s[0:3], s33 offset:80 ; 4-byte Folded Spill
	buffer_store_dword v12, off, s[0:3], s33 offset:92 ; 4-byte Folded Spill
	s_nop 0
	buffer_store_dword v13, off, s[0:3], s33 offset:96 ; 4-byte Folded Spill
	buffer_store_dword v6, off, s[0:3], s33 offset:84 ; 4-byte Folded Spill
	;; [unrolled: 3-line block ×3, first 2 shown]
	buffer_store_dword v41, off, s[0:3], s33 offset:100 ; 4-byte Folded Spill
	s_nop 0
	buffer_store_dword v42, off, s[0:3], s33 offset:104 ; 4-byte Folded Spill
	buffer_store_dword v43, off, s[0:3], s33 offset:108 ; 4-byte Folded Spill
	;; [unrolled: 1-line block ×4, first 2 shown]
	s_nop 0
	buffer_store_dword v51, off, s[0:3], s33 offset:124 ; 4-byte Folded Spill
	buffer_store_dword v59, off, s[0:3], s33 offset:116 ; 4-byte Folded Spill
	;; [unrolled: 1-line block ×4, first 2 shown]
	s_branch .LBB6_403
.LBB6_400:                              ;   in Loop: Header=BB6_403 Depth=1
	s_or_b64 exec, exec, s[44:45]
	s_waitcnt vmcnt(0)
	v_add_co_u32_e32 v48, vcc, 1, v48
	v_addc_co_u32_e32 v49, vcc, 0, v49, vcc
	flat_store_dwordx2 v[18:19], v[48:49]
.LBB6_401:                              ;   in Loop: Header=BB6_403 Depth=1
	s_or_b64 exec, exec, s[20:21]
.LBB6_402:                              ;   in Loop: Header=BB6_403 Depth=1
	s_or_b64 exec, exec, s[46:47]
	s_waitcnt vmcnt(0)
	v_add_co_u32_e32 v28, vcc, v28, v12
	v_addc_co_u32_e32 v29, vcc, 0, v29, vcc
	v_cmp_ge_u64_e32 vcc, v[28:29], v[41:42]
	s_or_b64 s[40:41], vcc, s[40:41]
	s_andn2_b64 exec, exec, s[40:41]
	s_cbranch_execz .LBB6_569
.LBB6_403:                              ; =>This Loop Header: Depth=1
                                        ;     Child Loop BB6_412 Depth 2
                                        ;     Child Loop BB6_436 Depth 2
	;; [unrolled: 1-line block ×10, first 2 shown]
	v_sub_co_u32_e32 v0, vcc, v41, v28
	v_subb_co_u32_e32 v1, vcc, v42, v29, vcc
	v_cmp_lt_u64_e32 vcc, v[12:13], v[0:1]
	v_mov_b32_e32 v2, 0
	v_cndmask_b32_e64 v33, v1, 0, vcc
	v_cndmask_b32_e32 v32, v0, v12, vcc
	v_cmp_eq_u64_e32 vcc, 0, v[32:33]
	v_add_u32_e32 v0, 15, v32
	v_and_b32_e32 v0, 0x3ffffff0, v0
	s_or_b64 s[44:45], s[6:7], vcc
	v_max_i32_e32 v45, s94, v0
	s_xor_b64 s[20:21], s[44:45], -1
	s_and_saveexec_b64 s[46:47], s[20:21]
	s_cbranch_execz .LBB6_522
; %bb.404:                              ;   in Loop: Header=BB6_403 Depth=1
	s_and_saveexec_b64 s[20:21], s[4:5]
	s_cbranch_execz .LBB6_406
; %bb.405:                              ;   in Loop: Header=BB6_403 Depth=1
	s_trap 2
	ds_read_b64 v[0:1], v0
	v_lshlrev_b64 v[2:3], 1, v[50:51]
	v_mov_b32_e32 v14, v15
	s_waitcnt lgkmcnt(0)
	v_add_co_u32_e32 v2, vcc, v0, v2
	v_addc_co_u32_e32 v3, vcc, v1, v3, vcc
	v_lshlrev_b64 v[0:1], 1, v[28:29]
	v_add_co_u32_e32 v0, vcc, v2, v0
	v_addc_co_u32_e32 v1, vcc, v3, v1, vcc
	ds_write_b64 v0, v[0:1]
	ds_write_b64 v0, v[14:15]
.LBB6_406:                              ;   in Loop: Header=BB6_403 Depth=1
	s_or_b64 exec, exec, s[20:21]
	v_and_b32_e32 v0, 8, v54
	v_min_u32_e32 v45, v45, v32
	v_cmp_ne_u32_e32 vcc, 0, v0
	s_and_saveexec_b64 s[56:57], vcc
	s_cbranch_execz .LBB6_428
; %bb.407:                              ;   in Loop: Header=BB6_403 Depth=1
	v_add_co_u32_e32 v0, vcc, 8, v22
	v_addc_co_u32_e32 v1, vcc, 0, v23, vcc
	s_waitcnt lgkmcnt(0)
	v_add_co_u32_e32 v33, vcc, 1, v48
	v_addc_co_u32_e32 v34, vcc, 0, v49, vcc
	v_cmp_lt_u64_e32 vcc, v[0:1], v[33:34]
	s_and_saveexec_b64 s[58:59], vcc
	s_cbranch_execz .LBB6_419
; %bb.408:                              ;   in Loop: Header=BB6_403 Depth=1
	v_and_b32_e32 v0, 64, v54
	s_mov_b32 s30, 0
	v_cmp_eq_u32_e32 vcc, 0, v0
	s_mov_b64 s[60:61], 0
                                        ; implicit-def: $sgpr62_sgpr63
                                        ; implicit-def: $sgpr72_sgpr73
                                        ; implicit-def: $sgpr74_sgpr75
	s_branch .LBB6_412
.LBB6_409:                              ;   in Loop: Header=BB6_412 Depth=2
	s_waitcnt vmcnt(0) lgkmcnt(0)
	v_add_co_u32_e64 v0, s[20:21], 8, v22
	v_addc_co_u32_e64 v1, s[20:21], 0, v23, s[20:21]
	v_cmp_ge_u64_e64 s[20:21], v[0:1], v[33:34]
	s_or_b64 s[88:89], s[88:89], exec
	s_orn2_b64 s[78:79], s[20:21], exec
.LBB6_410:                              ;   in Loop: Header=BB6_412 Depth=2
	s_or_b64 exec, exec, s[92:93]
	s_andn2_b64 s[20:21], s[74:75], exec
	s_and_b64 s[74:75], s[88:89], exec
	s_or_b64 s[74:75], s[20:21], s[74:75]
	s_andn2_b64 s[20:21], s[72:73], exec
	s_and_b64 s[72:73], s[78:79], exec
	s_or_b64 s[72:73], s[20:21], s[72:73]
.LBB6_411:                              ;   in Loop: Header=BB6_412 Depth=2
	s_or_b64 exec, exec, s[76:77]
	s_and_b64 s[20:21], exec, s[72:73]
	s_or_b64 s[60:61], s[20:21], s[60:61]
	s_andn2_b64 s[20:21], s[62:63], exec
	s_and_b64 s[62:63], s[74:75], exec
	s_or_b64 s[62:63], s[20:21], s[62:63]
	s_andn2_b64 exec, exec, s[60:61]
	s_cbranch_execz .LBB6_416
.LBB6_412:                              ;   Parent Loop BB6_403 Depth=1
                                        ; =>  This Inner Loop Header: Depth=2
	s_sleep 1
	s_waitcnt vmcnt(0) lgkmcnt(0)
	flat_load_dwordx2 v[22:23], v[18:19] glc
	s_or_b64 s[74:75], s[74:75], exec
	s_or_b64 s[72:73], s[72:73], exec
                                        ; implicit-def: $vgpr2
	s_and_saveexec_b64 s[76:77], vcc
	s_cbranch_execz .LBB6_411
; %bb.413:                              ;   in Loop: Header=BB6_412 Depth=2
	s_cmpk_lt_i32 s30, 0x270f
	s_cselect_b64 s[90:91], -1, 0
	s_cmpk_gt_i32 s30, 0x270e
	s_mov_b64 s[78:79], -1
	s_cbranch_scc0 .LBB6_415
; %bb.414:                              ;   in Loop: Header=BB6_412 Depth=2
	s_trap 2
	ds_read_b64 v[0:1], v0
	s_andn2_b64 s[90:91], s[90:91], exec
	s_mov_b32 s30, 0
	s_mov_b64 s[88:89], 0
	s_waitcnt vmcnt(0) lgkmcnt(0)
	flat_load_dword v2, v[0:1] glc
	s_waitcnt vmcnt(0) lgkmcnt(0)
	buffer_wbinvl1_vol
	v_cmp_eq_u32_e64 s[20:21], 0, v2
	s_and_b64 s[20:21], s[20:21], exec
	s_or_b64 s[90:91], s[90:91], s[20:21]
	s_and_saveexec_b64 s[92:93], s[90:91]
	s_cbranch_execz .LBB6_410
	s_branch .LBB6_409
.LBB6_415:                              ;   in Loop: Header=BB6_412 Depth=2
	s_add_i32 s30, s30, 1
	s_mov_b64 s[88:89], -1
                                        ; implicit-def: $vgpr2
	s_and_saveexec_b64 s[92:93], s[90:91]
	s_cbranch_execz .LBB6_410
	s_branch .LBB6_409
.LBB6_416:                              ;   in Loop: Header=BB6_403 Depth=1
	s_or_b64 exec, exec, s[60:61]
	s_xor_b64 s[20:21], s[62:63], -1
	s_and_saveexec_b64 s[60:61], s[20:21]
	s_xor_b64 s[20:21], exec, s[60:61]
	s_cbranch_execz .LBB6_418
; %bb.417:                              ;   in Loop: Header=BB6_403 Depth=1
	v_or_b32_e32 v54, 64, v54
	s_waitcnt lgkmcnt(0)
	ds_write_b32 v0, v2
	s_trap 2
.LBB6_418:                              ;   in Loop: Header=BB6_403 Depth=1
	s_or_b64 exec, exec, s[20:21]
.LBB6_419:                              ;   in Loop: Header=BB6_403 Depth=1
	s_or_b64 exec, exec, s[58:59]
	v_and_b32_e32 v0, 0x100, v54
	v_cmp_ne_u32_e32 vcc, 0, v0
	v_and_b32_e32 v2, 7, v48
	s_mov_b64 s[20:21], -1
	;;#ASMSTART
	s_wakeup
	;;#ASMEND
                                        ; implicit-def: $vgpr8_vgpr9
	s_and_saveexec_b64 s[58:59], vcc
	s_cbranch_execz .LBB6_423
; %bb.420:                              ;   in Loop: Header=BB6_403 Depth=1
	v_mad_u64_u32 v[35:36], s[20:21], v2, 24, v[46:47]
	v_lshlrev_b32_e32 v14, 1, v45
                                        ; implicit-def: $vgpr8_vgpr9
	flat_load_dword v0, v[35:36]
	s_nop 0
	flat_store_dwordx2 v[35:36], v[14:15] offset:8
	s_waitcnt vmcnt(0) lgkmcnt(0)
	v_cmp_ne_u32_e32 vcc, 1, v0
	v_cmp_eq_u32_e64 s[20:21], 1, v0
	s_and_saveexec_b64 s[60:61], s[20:21]
	s_cbranch_execz .LBB6_422
; %bb.421:                              ;   in Loop: Header=BB6_403 Depth=1
	flat_load_dword v0, v[35:36] offset:4 glc
	s_waitcnt vmcnt(0) lgkmcnt(0)
	v_ashrrev_i32_e32 v1, 31, v0
	v_lshrrev_b64 v[8:9], 1, v[0:1]
.LBB6_422:                              ;   in Loop: Header=BB6_403 Depth=1
	s_or_b64 exec, exec, s[60:61]
	s_orn2_b64 s[20:21], vcc, exec
.LBB6_423:                              ;   in Loop: Header=BB6_403 Depth=1
	s_or_b64 exec, exec, s[58:59]
	s_and_saveexec_b64 s[58:59], s[20:21]
; %bb.424:                              ;   in Loop: Header=BB6_403 Depth=1
	v_mad_i64_i32 v[8:9], s[20:21], v2, v59, 0
; %bb.425:                              ;   in Loop: Header=BB6_403 Depth=1
	s_or_b64 exec, exec, s[58:59]
	v_lshlrev_b64 v[0:1], 1, v[8:9]
	v_add_co_u32_e32 v0, vcc, v10, v0
	v_addc_co_u32_e32 v1, vcc, v11, v1, vcc
	ds_write_b64 v0, v[0:1] offset:784
	v_and_b32_e32 v0, 0x2000, v54
	v_cmp_ne_u32_e32 vcc, 0, v0
	s_and_saveexec_b64 s[20:21], vcc
	s_cbranch_execz .LBB6_427
; %bb.426:                              ;   in Loop: Header=BB6_403 Depth=1
	ds_read_b64 v[0:1], v0 offset:872
	s_waitcnt lgkmcnt(0)
	v_add_co_u32_e32 v0, vcc, 1, v0
	v_addc_co_u32_e32 v1, vcc, 0, v1, vcc
	ds_write_b64 v0, v[0:1] offset:872
.LBB6_427:                              ;   in Loop: Header=BB6_403 Depth=1
	s_or_b64 exec, exec, s[20:21]
	v_mov_b32_e32 v49, v34
	v_mov_b32_e32 v48, v33
.LBB6_428:                              ;   in Loop: Header=BB6_403 Depth=1
	s_or_b64 exec, exec, s[56:57]
	s_and_saveexec_b64 s[20:21], s[10:11]
	s_cbranch_execz .LBB6_447
; %bb.429:                              ;   in Loop: Header=BB6_403 Depth=1
	s_and_saveexec_b64 s[56:57], s[28:29]
	s_xor_b64 s[56:57], exec, s[56:57]
	s_cbranch_execz .LBB6_444
; %bb.430:                              ;   in Loop: Header=BB6_403 Depth=1
	s_and_saveexec_b64 s[58:59], s[12:13]
	s_cbranch_execz .LBB6_443
; %bb.431:                              ;   in Loop: Header=BB6_403 Depth=1
	s_mov_b64 s[62:63], exec
	v_mbcnt_lo_u32_b32 v0, s62, 0
	v_mbcnt_hi_u32_b32 v0, s63, v0
	v_cmp_eq_u32_e32 vcc, 0, v0
	s_waitcnt vmcnt(0) lgkmcnt(0)
	buffer_wbinvl1_vol
	s_and_saveexec_b64 s[60:61], vcc
	s_cbranch_execz .LBB6_433
; %bb.432:                              ;   in Loop: Header=BB6_403 Depth=1
	s_bcnt1_i32_b64 s62, s[62:63]
	v_mov_b32_e32 v14, s62
	ds_add_u64 v0, v[14:15]
	s_trap 2
.LBB6_433:                              ;   in Loop: Header=BB6_403 Depth=1
	s_or_b64 exec, exec, s[60:61]
	s_trap 2
	ds_read_b64 v[0:1], v0
	s_waitcnt lgkmcnt(0)
	v_add_co_u32_e32 v20, vcc, v20, v30
	v_addc_co_u32_e32 v21, vcc, 0, v21, vcc
	v_cmp_lt_u64_e32 vcc, v[0:1], v[20:21]
	s_and_saveexec_b64 s[60:61], vcc
	s_cbranch_execz .LBB6_442
; %bb.434:                              ;   in Loop: Header=BB6_403 Depth=1
	s_mov_b32 s90, 0
	s_mov_b64 s[62:63], 0
                                        ; implicit-def: $sgpr72_sgpr73
                                        ; implicit-def: $sgpr74_sgpr75
	s_branch .LBB6_436
.LBB6_435:                              ;   in Loop: Header=BB6_436 Depth=2
	s_or_b64 exec, exec, s[78:79]
	s_and_b64 s[76:77], exec, s[88:89]
	s_or_b64 s[62:63], s[76:77], s[62:63]
	s_andn2_b64 s[72:73], s[72:73], exec
	s_and_b64 s[76:77], s[74:75], exec
	s_or_b64 s[72:73], s[72:73], s[76:77]
	s_andn2_b64 exec, exec, s[62:63]
	s_cbranch_execz .LBB6_440
.LBB6_436:                              ;   Parent Loop BB6_403 Depth=1
                                        ; =>  This Inner Loop Header: Depth=2
	s_add_i32 s90, s90, 1
	s_cmpk_lg_i32 s90, 0x2710
	s_cselect_b64 s[76:77], -1, 0
	s_and_b64 vcc, exec, s[76:77]
	s_cbranch_vccz .LBB6_438
; %bb.437:                              ;   in Loop: Header=BB6_436 Depth=2
	s_mov_b64 s[88:89], -1
	s_or_b64 s[74:75], s[74:75], exec
	s_and_saveexec_b64 s[78:79], s[76:77]
	s_cbranch_execz .LBB6_435
	s_branch .LBB6_439
.LBB6_438:                              ;   in Loop: Header=BB6_436 Depth=2
	s_trap 2
	ds_read_b64 v[0:1], v0
	s_andn2_b64 s[76:77], s[76:77], exec
	s_mov_b32 s90, 0
	s_waitcnt lgkmcnt(0)
	flat_load_dword v0, v[0:1] glc
	s_waitcnt vmcnt(0) lgkmcnt(0)
	buffer_wbinvl1_vol
	v_cmp_eq_u32_e32 vcc, 0, v0
	s_and_b64 s[78:79], vcc, exec
	s_or_b64 s[76:77], s[76:77], s[78:79]
	s_mov_b64 s[88:89], -1
	s_or_b64 s[74:75], s[74:75], exec
	s_and_saveexec_b64 s[78:79], s[76:77]
	s_cbranch_execz .LBB6_435
.LBB6_439:                              ;   in Loop: Header=BB6_436 Depth=2
	s_sleep 1
	s_trap 2
	ds_read_b64 v[0:1], v0
	s_waitcnt lgkmcnt(0)
	s_andn2_b64 s[74:75], s[74:75], exec
	v_cmp_ge_u64_e32 vcc, v[0:1], v[20:21]
	s_orn2_b64 s[88:89], vcc, exec
	s_branch .LBB6_435
.LBB6_440:                              ;   in Loop: Header=BB6_403 Depth=1
	s_or_b64 exec, exec, s[62:63]
	s_and_saveexec_b64 s[62:63], s[72:73]
	s_xor_b64 s[62:63], exec, s[62:63]
	s_cbranch_execz .LBB6_442
; %bb.441:                              ;   in Loop: Header=BB6_403 Depth=1
	ds_write_b32 v0, v44
	s_trap 2
.LBB6_442:                              ;   in Loop: Header=BB6_403 Depth=1
	s_or_b64 exec, exec, s[60:61]
	;;#ASMSTART
	s_wakeup
	;;#ASMEND
.LBB6_443:                              ;   in Loop: Header=BB6_403 Depth=1
	s_or_b64 exec, exec, s[58:59]
.LBB6_444:                              ;   in Loop: Header=BB6_403 Depth=1
	s_andn2_saveexec_b64 s[56:57], s[56:57]
	s_cbranch_execz .LBB6_446
; %bb.445:                              ;   in Loop: Header=BB6_403 Depth=1
	s_waitcnt vmcnt(0) lgkmcnt(0)
	buffer_wbinvl1_vol
	s_barrier
.LBB6_446:                              ;   in Loop: Header=BB6_403 Depth=1
	s_or_b64 exec, exec, s[56:57]
.LBB6_447:                              ;   in Loop: Header=BB6_403 Depth=1
	s_or_b64 exec, exec, s[20:21]
	s_trap 2
	ds_read_b32 v2, v0
	v_and_b32_e32 v0, 0x4000, v54
	v_cmp_ne_u32_e32 vcc, 0, v0
	s_and_b64 s[56:57], s[42:43], vcc
	s_and_saveexec_b64 s[20:21], s[56:57]
	s_cbranch_execz .LBB6_466
; %bb.448:                              ;   in Loop: Header=BB6_403 Depth=1
	s_and_saveexec_b64 s[56:57], s[28:29]
	s_xor_b64 s[56:57], exec, s[56:57]
	s_cbranch_execz .LBB6_463
; %bb.449:                              ;   in Loop: Header=BB6_403 Depth=1
	s_and_saveexec_b64 s[58:59], s[12:13]
	s_cbranch_execz .LBB6_462
; %bb.450:                              ;   in Loop: Header=BB6_403 Depth=1
	s_mov_b64 s[62:63], exec
	v_mbcnt_lo_u32_b32 v0, s62, 0
	v_mbcnt_hi_u32_b32 v0, s63, v0
	v_cmp_eq_u32_e32 vcc, 0, v0
	s_waitcnt vmcnt(0) lgkmcnt(0)
	buffer_wbinvl1_vol
	s_and_saveexec_b64 s[60:61], vcc
	s_cbranch_execz .LBB6_452
; %bb.451:                              ;   in Loop: Header=BB6_403 Depth=1
	s_bcnt1_i32_b64 s62, s[62:63]
	v_mov_b32_e32 v14, s62
	ds_add_u64 v0, v[14:15]
	s_trap 2
.LBB6_452:                              ;   in Loop: Header=BB6_403 Depth=1
	s_or_b64 exec, exec, s[60:61]
	s_trap 2
	ds_read_b64 v[0:1], v0
	s_waitcnt lgkmcnt(0)
	v_add_co_u32_e32 v20, vcc, v20, v30
	v_addc_co_u32_e32 v21, vcc, 0, v21, vcc
	v_cmp_lt_u64_e32 vcc, v[0:1], v[20:21]
	s_and_saveexec_b64 s[60:61], vcc
	s_cbranch_execz .LBB6_461
; %bb.453:                              ;   in Loop: Header=BB6_403 Depth=1
	s_mov_b32 s90, 0
	s_mov_b64 s[62:63], 0
                                        ; implicit-def: $sgpr72_sgpr73
                                        ; implicit-def: $sgpr74_sgpr75
	s_branch .LBB6_455
.LBB6_454:                              ;   in Loop: Header=BB6_455 Depth=2
	s_or_b64 exec, exec, s[78:79]
	s_and_b64 s[76:77], exec, s[88:89]
	s_or_b64 s[62:63], s[76:77], s[62:63]
	s_andn2_b64 s[72:73], s[72:73], exec
	s_and_b64 s[76:77], s[74:75], exec
	s_or_b64 s[72:73], s[72:73], s[76:77]
	s_andn2_b64 exec, exec, s[62:63]
	s_cbranch_execz .LBB6_459
.LBB6_455:                              ;   Parent Loop BB6_403 Depth=1
                                        ; =>  This Inner Loop Header: Depth=2
	s_add_i32 s90, s90, 1
	s_cmpk_lg_i32 s90, 0x2710
	s_cselect_b64 s[76:77], -1, 0
	s_and_b64 vcc, exec, s[76:77]
	s_cbranch_vccz .LBB6_457
; %bb.456:                              ;   in Loop: Header=BB6_455 Depth=2
	s_mov_b64 s[88:89], -1
	s_or_b64 s[74:75], s[74:75], exec
	s_and_saveexec_b64 s[78:79], s[76:77]
	s_cbranch_execz .LBB6_454
	s_branch .LBB6_458
.LBB6_457:                              ;   in Loop: Header=BB6_455 Depth=2
	s_trap 2
	ds_read_b64 v[0:1], v0
	s_andn2_b64 s[76:77], s[76:77], exec
	s_mov_b32 s90, 0
	s_waitcnt lgkmcnt(0)
	flat_load_dword v0, v[0:1] glc
	s_waitcnt vmcnt(0) lgkmcnt(0)
	buffer_wbinvl1_vol
	v_cmp_eq_u32_e32 vcc, 0, v0
	s_and_b64 s[78:79], vcc, exec
	s_or_b64 s[76:77], s[76:77], s[78:79]
	s_mov_b64 s[88:89], -1
	s_or_b64 s[74:75], s[74:75], exec
	s_and_saveexec_b64 s[78:79], s[76:77]
	s_cbranch_execz .LBB6_454
.LBB6_458:                              ;   in Loop: Header=BB6_455 Depth=2
	s_sleep 1
	s_trap 2
	ds_read_b64 v[0:1], v0
	s_waitcnt lgkmcnt(0)
	s_andn2_b64 s[74:75], s[74:75], exec
	v_cmp_ge_u64_e32 vcc, v[0:1], v[20:21]
	s_orn2_b64 s[88:89], vcc, exec
	s_branch .LBB6_454
.LBB6_459:                              ;   in Loop: Header=BB6_403 Depth=1
	s_or_b64 exec, exec, s[62:63]
	s_and_saveexec_b64 s[62:63], s[72:73]
	s_xor_b64 s[62:63], exec, s[62:63]
	s_cbranch_execz .LBB6_461
; %bb.460:                              ;   in Loop: Header=BB6_403 Depth=1
	ds_write_b32 v0, v44
	s_trap 2
.LBB6_461:                              ;   in Loop: Header=BB6_403 Depth=1
	s_or_b64 exec, exec, s[60:61]
	;;#ASMSTART
	s_wakeup
	;;#ASMEND
.LBB6_462:                              ;   in Loop: Header=BB6_403 Depth=1
	s_or_b64 exec, exec, s[58:59]
.LBB6_463:                              ;   in Loop: Header=BB6_403 Depth=1
	s_andn2_saveexec_b64 s[56:57], s[56:57]
	s_cbranch_execz .LBB6_465
; %bb.464:                              ;   in Loop: Header=BB6_403 Depth=1
	s_waitcnt vmcnt(0) lgkmcnt(0)
	buffer_wbinvl1_vol
	s_barrier
.LBB6_465:                              ;   in Loop: Header=BB6_403 Depth=1
	s_or_b64 exec, exec, s[56:57]
.LBB6_466:                              ;   in Loop: Header=BB6_403 Depth=1
	s_or_b64 exec, exec, s[20:21]
	s_trap 2
	ds_read_b64 v[33:34], v0
	s_waitcnt lgkmcnt(0)
	v_cmp_eq_u64_e32 vcc, 0, v[33:34]
	s_cbranch_vccnz .LBB6_474
; %bb.467:                              ;   in Loop: Header=BB6_403 Depth=1
	s_trap 2
	ds_read_b64 v[35:36], v0
	s_waitcnt lgkmcnt(0)
	v_cmp_eq_u64_e32 vcc, 0, v[35:36]
	s_cbranch_vccnz .LBB6_474
; %bb.468:                              ;   in Loop: Header=BB6_403 Depth=1
	s_mov_b64 s[20:21], -1
	s_and_saveexec_b64 s[56:57], s[14:15]
	s_cbranch_execz .LBB6_470
; %bb.469:                              ;   in Loop: Header=BB6_403 Depth=1
	ds_read_b32 v0, v0 offset:720
	s_waitcnt lgkmcnt(0)
	v_and_b32_e32 v0, 15, v0
	v_cmp_eq_u32_e32 vcc, 0, v0
	s_orn2_b64 s[20:21], vcc, exec
.LBB6_470:                              ;   in Loop: Header=BB6_403 Depth=1
	s_or_b64 exec, exec, s[56:57]
	s_and_saveexec_b64 s[56:57], s[16:17]
	s_cbranch_execz .LBB6_472
; %bb.471:                              ;   in Loop: Header=BB6_403 Depth=1
	ds_read_b32 v0, v0 offset:784
	s_waitcnt lgkmcnt(0)
	v_and_b32_e32 v0, 15, v0
	v_cmp_eq_u32_e32 vcc, 0, v0
	s_and_b64 s[58:59], s[20:21], vcc
	s_andn2_b64 s[20:21], s[20:21], exec
	s_and_b64 s[58:59], s[58:59], exec
	s_or_b64 s[20:21], s[20:21], s[58:59]
.LBB6_472:                              ;   in Loop: Header=BB6_403 Depth=1
	s_or_b64 exec, exec, s[56:57]
	v_cmp_eq_u32_e32 vcc, 0, v2
	s_xor_b64 s[20:21], s[20:21], -1
	v_cndmask_b32_e32 v9, 0, v45, vcc
	v_cndmask_b32_e64 v0, 0, 1, s[20:21]
	v_lshlrev_b32_e32 v60, 1, v9
	s_mov_b64 s[58:59], -1
	v_cmp_ne_u32_e32 vcc, 0, v0
	v_mov_b32_e32 v26, 0
	buffer_store_dword v46, off, s[0:3], s33 offset:60 ; 4-byte Folded Spill
	s_nop 0
	buffer_store_dword v47, off, s[0:3], s33 offset:64 ; 4-byte Folded Spill
	buffer_store_dword v48, off, s[0:3], s33 offset:68 ; 4-byte Folded Spill
	;; [unrolled: 1-line block ×3, first 2 shown]
	s_cbranch_vccz .LBB6_475
; %bb.473:                              ;   in Loop: Header=BB6_403 Depth=1
	v_mov_b32_e32 v52, v40
	v_mov_b32_e32 v56, v27
	s_and_saveexec_b64 s[20:21], s[58:59]
	s_cbranch_execnz .LBB6_488
	s_branch .LBB6_496
.LBB6_474:                              ;   in Loop: Header=BB6_403 Depth=1
	s_mov_b64 s[20:21], 0
	s_and_saveexec_b64 s[56:57], s[10:11]
	s_cbranch_execnz .LBB6_497
	s_branch .LBB6_515
.LBB6_475:                              ;   in Loop: Header=BB6_403 Depth=1
	v_lshrrev_b32_e32 v8, 12, v9
	v_sub_u32_e32 v31, v8, v27
	v_cmp_lt_i32_e32 vcc, 0, v31
	s_and_saveexec_b64 s[56:57], vcc
	s_cbranch_execz .LBB6_479
; %bb.476:                              ;   in Loop: Header=BB6_403 Depth=1
	v_mov_b32_e32 v38, v36
	v_mov_b32_e32 v49, v34
	s_mov_b64 s[58:59], 0
	v_mov_b32_e32 v55, v4
	v_mov_b32_e32 v37, v35
	;; [unrolled: 1-line block ×3, first 2 shown]
	buffer_store_dword v14, off, s[0:3], s33 offset:152 ; 4-byte Folded Spill
	s_nop 0
	buffer_store_dword v15, off, s[0:3], s33 offset:156 ; 4-byte Folded Spill
.LBB6_477:                              ;   Parent Loop BB6_403 Depth=1
                                        ; =>  This Inner Loop Header: Depth=2
	v_add_co_u32_e32 v0, vcc, v62, v48
	v_addc_co_u32_e32 v1, vcc, v55, v49, vcc
	global_load_dwordx4 v[56:59], v[0:1], off glc slc
	global_load_dwordx4 v[14:17], v[0:1], off offset:1024 glc slc
	global_load_dwordx4 v[39:42], v[0:1], off offset:2048 glc slc
	;; [unrolled: 1-line block ×3, first 2 shown]
	v_add_co_u32_e32 v0, vcc, s95, v0
	v_addc_co_u32_e32 v1, vcc, 0, v1, vcc
	global_load_dwordx4 v[10:13], v[0:1], off glc slc
	global_load_dwordx4 v[50:53], v[0:1], off offset:1024 glc slc
	global_load_dwordx4 v[4:7], v[0:1], off offset:2048 glc slc
	s_nop 0
	global_load_dwordx4 v[0:3], v[0:1], off offset:3072 glc slc
	v_add_co_u32_e32 v46, vcc, v62, v37
	v_addc_co_u32_e32 v47, vcc, v55, v38, vcc
	v_add_co_u32_e32 v48, vcc, v48, v61
	v_addc_co_u32_e32 v49, vcc, 0, v49, vcc
	v_sub_u32_e32 v31, v31, v30
	v_add_co_u32_e32 v37, vcc, v37, v61
	v_addc_co_u32_e32 v38, vcc, 0, v38, vcc
	v_cmp_gt_i32_e64 s[20:21], 1, v31
	v_add_co_u32_e32 v43, vcc, s95, v46
	s_or_b64 s[58:59], s[20:21], s[58:59]
	v_addc_co_u32_e32 v44, vcc, 0, v47, vcc
	s_waitcnt vmcnt(0)
	global_store_dwordx4 v[46:47], v[56:59], off glc slc
	global_store_dwordx4 v[46:47], v[14:17], off offset:1024 glc slc
	global_store_dwordx4 v[46:47], v[39:42], off offset:2048 glc slc
	;; [unrolled: 1-line block ×3, first 2 shown]
	global_store_dwordx4 v[43:44], v[10:13], off glc slc
	global_store_dwordx4 v[43:44], v[50:53], off offset:1024 glc slc
	global_store_dwordx4 v[43:44], v[4:7], off offset:2048 glc slc
	;; [unrolled: 1-line block ×3, first 2 shown]
	s_andn2_b64 exec, exec, s[58:59]
	s_cbranch_execnz .LBB6_477
; %bb.478:                              ;   in Loop: Header=BB6_403 Depth=1
	s_or_b64 exec, exec, s[58:59]
	buffer_load_dword v40, off, s[0:3], s33 offset:128 ; 4-byte Folded Reload
	buffer_load_dword v41, off, s[0:3], s33 offset:100 ; 4-byte Folded Reload
	;; [unrolled: 1-line block ×22, first 2 shown]
	v_mov_b32_e32 v4, v55
	v_lshlrev_b32_e32 v53, 10, v30
	v_lshlrev_b32_e32 v55, 11, v30
	s_waitcnt vmcnt(17)
	v_mov_b32_e32 v44, 1
.LBB6_479:                              ;   in Loop: Header=BB6_403 Depth=1
	s_or_b64 exec, exec, s[56:57]
	v_lshlrev_b32_e32 v37, 13, v8
	v_cmp_ne_u32_e32 vcc, v60, v37
	s_mov_b64 s[58:59], 0
	v_mov_b32_e32 v26, 0
                                        ; implicit-def: $vgpr52
                                        ; implicit-def: $vgpr56
	s_and_saveexec_b64 s[56:57], vcc
	s_cbranch_execz .LBB6_487
; %bb.480:                              ;   in Loop: Header=BB6_403 Depth=1
	buffer_load_dword v2, off, s[0:3], s33 offset:160 ; 4-byte Folded Reload
	v_lshlrev_b32_e32 v1, 6, v31
	v_sub_u32_e32 v0, v60, v37
	s_waitcnt vmcnt(0)
	v_sub_u32_e32 v1, v2, v1
	v_ashrrev_i32_e32 v2, 31, v1
	v_lshrrev_b32_e32 v2, 26, v2
	v_add_u32_e32 v2, v1, v2
	v_ashrrev_i32_e32 v3, 6, v2
	v_and_b32_e32 v2, 0xffffffc0, v2
	v_sub_u32_e32 v31, v1, v2
	v_lshlrev_b32_e32 v1, 4, v31
	v_lshl_add_u32 v52, v3, 10, v1
	v_ashrrev_i32_e32 v1, 31, v0
	v_lshrrev_b32_e32 v1, 22, v1
	v_add_u32_e32 v1, v0, v1
	v_and_b32_e32 v38, 0xfffffc00, v1
	v_sub_u32_e32 v49, v0, v38
	v_ashrrev_i32_e32 v2, 10, v1
	v_cmp_lt_i32_e32 vcc, 15, v49
	v_sub_u32_e32 v26, v0, v52
	v_addc_co_u32_e64 v0, s[20:21], 0, v2, vcc
	v_sub_u32_e32 v48, v0, v3
	v_cmp_lt_i32_e64 s[20:21], 15, v26
	s_and_saveexec_b64 s[58:59], s[20:21]
	s_cbranch_execz .LBB6_484
; %bb.481:                              ;   in Loop: Header=BB6_403 Depth=1
	v_add_u32_e32 v52, v52, v37
	v_ashrrev_i32_e32 v46, 31, v52
	s_mov_b64 s[60:61], 0
.LBB6_482:                              ;   Parent Loop BB6_403 Depth=1
                                        ; =>  This Inner Loop Header: Depth=2
	v_add_co_u32_e64 v0, s[20:21], v33, v52
	v_addc_co_u32_e64 v1, s[20:21], v34, v46, s[20:21]
	global_load_dwordx4 v[0:3], v[0:1], off glc slc
	v_add_co_u32_e64 v4, s[20:21], v35, v52
	v_addc_co_u32_e64 v5, s[20:21], v36, v46, s[20:21]
	v_add_co_u32_e64 v52, s[20:21], v52, v53
	v_sub_u32_e32 v26, v26, v53
	v_addc_co_u32_e64 v46, s[20:21], 0, v46, s[20:21]
	v_cmp_gt_i32_e64 s[20:21], 16, v26
	v_sub_u32_e32 v48, v48, v30
	s_or_b64 s[60:61], s[20:21], s[60:61]
	s_waitcnt vmcnt(0)
	global_store_dwordx4 v[4:5], v[0:3], off glc slc
	s_andn2_b64 exec, exec, s[60:61]
	s_cbranch_execnz .LBB6_482
; %bb.483:                              ;   in Loop: Header=BB6_403 Depth=1
	s_or_b64 exec, exec, s[60:61]
.LBB6_484:                              ;   in Loop: Header=BB6_403 Depth=1
	s_or_b64 exec, exec, s[58:59]
	v_and_b32_e32 v46, 14, v60
	v_cndmask_b32_e32 v60, v49, v46, vcc
	v_mov_b32_e32 v26, 0
	v_cmp_ne_u32_e64 s[20:21], 0, v60
	s_mov_b64 s[58:59], 0
                                        ; implicit-def: $vgpr52
                                        ; implicit-def: $vgpr56
	s_and_saveexec_b64 s[60:61], s[20:21]
	s_cbranch_execz .LBB6_486
; %bb.485:                              ;   in Loop: Header=BB6_403 Depth=1
	v_sub_u32_e32 v0, v49, v46
	v_cndmask_b32_e32 v0, 0, v0, vcc
	v_cmp_lt_i32_e32 vcc, 0, v48
	v_add3_u32 v26, v38, v37, v0
	v_cndmask_b32_e32 v0, 0, v30, vcc
	v_sub_u32_e32 v0, v0, v48
	v_lshl_add_u32 v52, v0, 6, v31
	v_ashrrev_i32_e32 v0, 31, v52
	v_lshrrev_b32_e32 v0, 26, v0
	v_add_u32_e32 v0, v52, v0
	s_mov_b64 s[58:59], exec
	v_ashrrev_i32_e32 v56, 6, v0
.LBB6_486:                              ;   in Loop: Header=BB6_403 Depth=1
	s_or_b64 exec, exec, s[60:61]
	s_and_b64 s[58:59], s[58:59], exec
	v_ashrrev_i32_e32 v4, 31, v62
.LBB6_487:                              ;   in Loop: Header=BB6_403 Depth=1
	s_or_b64 exec, exec, s[56:57]
	s_and_saveexec_b64 s[20:21], s[58:59]
	s_cbranch_execz .LBB6_496
.LBB6_488:                              ;   in Loop: Header=BB6_403 Depth=1
	v_ashrrev_i32_e32 v0, 31, v60
	v_lshrrev_b32_e32 v0, 21, v0
	v_add_u32_e32 v0, v60, v0
	s_waitcnt vmcnt(0)
	v_ashrrev_i32_e32 v47, 11, v0
	v_sub_u32_e32 v31, v47, v56
	v_ashrrev_i32_e32 v0, 31, v52
	v_cmp_lt_i32_e32 vcc, 0, v31
	v_lshrrev_b32_e32 v46, 26, v0
	s_and_saveexec_b64 s[56:57], vcc
	s_cbranch_execz .LBB6_492
; %bb.489:                              ;   in Loop: Header=BB6_403 Depth=1
	v_add_u32_e32 v0, v52, v46
	v_and_b32_e32 v0, 0x7fffffc0, v0
	v_sub_u32_e32 v0, v52, v0
	v_lshlrev_b32_e32 v0, 1, v0
	v_lshlrev_b32_e32 v1, 11, v56
	v_add3_u32 v56, v0, v26, v1
	v_mov_b32_e32 v38, v36
	v_mov_b32_e32 v49, v34
	;; [unrolled: 1-line block ×3, first 2 shown]
	v_ashrrev_i32_e32 v57, 31, v56
	s_mov_b64 s[58:59], 0
	v_mov_b32_e32 v37, v35
	v_mov_b32_e32 v48, v33
.LBB6_490:                              ;   Parent Loop BB6_403 Depth=1
                                        ; =>  This Inner Loop Header: Depth=2
	v_add_co_u32_e32 v0, vcc, v56, v48
	v_addc_co_u32_e32 v1, vcc, v57, v49, vcc
	flat_load_ushort v2, v[0:1] glc slc
	flat_load_ushort v3, v[0:1] offset:128 glc slc
	flat_load_ushort v4, v[0:1] offset:256 glc slc
	;; [unrolled: 1-line block ×15, first 2 shown]
	v_add_co_u32_e32 v0, vcc, v56, v37
	v_addc_co_u32_e32 v1, vcc, v57, v38, vcc
	v_add_co_u32_e32 v48, vcc, v48, v55
	v_addc_co_u32_e32 v49, vcc, 0, v49, vcc
	v_add_co_u32_e32 v37, vcc, v37, v55
	v_sub_u32_e32 v31, v31, v30
	v_addc_co_u32_e32 v38, vcc, 0, v38, vcc
	v_cmp_gt_i32_e32 vcc, 1, v31
	s_or_b64 s[58:59], vcc, s[58:59]
	s_waitcnt vmcnt(0) lgkmcnt(0)
	flat_store_short v[0:1], v2 glc slc
	flat_store_short v[0:1], v3 offset:128 glc slc
	flat_store_short v[0:1], v4 offset:256 glc slc
	;; [unrolled: 1-line block ×15, first 2 shown]
	s_andn2_b64 exec, exec, s[58:59]
	s_cbranch_execnz .LBB6_490
; %bb.491:                              ;   in Loop: Header=BB6_403 Depth=1
	s_or_b64 exec, exec, s[58:59]
	buffer_load_dword v10, off, s[0:3], s33 offset:76 ; 4-byte Folded Reload
	buffer_load_dword v11, off, s[0:3], s33 offset:80 ; 4-byte Folded Reload
	;; [unrolled: 1-line block ×6, first 2 shown]
	v_mov_b32_e32 v15, v25
	v_ashrrev_i32_e32 v4, 31, v62
.LBB6_492:                              ;   in Loop: Header=BB6_403 Depth=1
	s_or_b64 exec, exec, s[56:57]
	v_lshlrev_b32_e32 v37, 11, v47
	v_cmp_ne_u32_e32 vcc, v60, v37
	s_and_b64 exec, exec, vcc
	s_cbranch_execz .LBB6_496
; %bb.493:                              ;   in Loop: Header=BB6_403 Depth=1
	v_add_u32_e32 v0, v52, v46
	v_and_b32_e32 v0, 0xffffffc0, v0
	v_sub_u32_e32 v0, v52, v0
	v_lshlrev_b32_e32 v1, 6, v31
	v_sub_u32_e32 v0, v0, v1
	v_ashrrev_i32_e32 v1, 31, v0
	v_lshrrev_b32_e32 v1, 26, v1
	v_add_u32_e32 v1, v0, v1
	v_and_b32_e32 v2, 0x7fffffc0, v1
	v_sub_u32_e32 v0, v0, v2
	v_lshlrev_b32_e32 v1, 1, v1
	v_and_b32_e32 v1, 0xffffff80, v1
	v_lshlrev_b32_e32 v0, 1, v0
	v_add3_u32 v31, v1, v0, v37
	v_sub_u32_e32 v3, v60, v31
	v_cmp_lt_i32_e32 vcc, 1, v3
	s_and_b64 exec, exec, vcc
	s_cbranch_execz .LBB6_496
; %bb.494:                              ;   in Loop: Header=BB6_403 Depth=1
	v_add_u32_e32 v26, v31, v26
	v_ashrrev_i32_e32 v31, 31, v26
	s_mov_b64 s[56:57], 0
.LBB6_495:                              ;   Parent Loop BB6_403 Depth=1
                                        ; =>  This Inner Loop Header: Depth=2
	v_add_co_u32_e32 v0, vcc, v33, v26
	v_addc_co_u32_e32 v1, vcc, v34, v31, vcc
	flat_load_ushort v2, v[0:1] glc slc
	v_add_co_u32_e32 v0, vcc, v35, v26
	v_addc_co_u32_e32 v1, vcc, v36, v31, vcc
	v_add_co_u32_e32 v26, vcc, v26, v43
	v_sub_u32_e32 v3, v3, v43
	v_addc_co_u32_e32 v31, vcc, 0, v31, vcc
	v_cmp_gt_i32_e32 vcc, 2, v3
	s_or_b64 s[56:57], vcc, s[56:57]
	s_waitcnt vmcnt(0) lgkmcnt(0)
	flat_store_short v[0:1], v2 glc slc
	s_andn2_b64 exec, exec, s[56:57]
	s_cbranch_execnz .LBB6_495
.LBB6_496:                              ;   in Loop: Header=BB6_403 Depth=1
	s_or_b64 exec, exec, s[20:21]
	buffer_load_dword v46, off, s[0:3], s33 offset:60 ; 4-byte Folded Reload
	buffer_load_dword v47, off, s[0:3], s33 offset:64 ; 4-byte Folded Reload
	;; [unrolled: 1-line block ×4, first 2 shown]
	v_cmp_ne_u32_e64 s[20:21], 0, v9
	s_and_saveexec_b64 s[56:57], s[10:11]
	s_cbranch_execz .LBB6_515
.LBB6_497:                              ;   in Loop: Header=BB6_403 Depth=1
	s_and_saveexec_b64 s[58:59], s[28:29]
	s_xor_b64 s[58:59], exec, s[58:59]
	s_cbranch_execz .LBB6_512
; %bb.498:                              ;   in Loop: Header=BB6_403 Depth=1
	s_and_saveexec_b64 s[60:61], s[12:13]
	s_cbranch_execz .LBB6_511
; %bb.499:                              ;   in Loop: Header=BB6_403 Depth=1
	s_mov_b64 s[72:73], exec
	v_mbcnt_lo_u32_b32 v0, s72, 0
	v_mbcnt_hi_u32_b32 v0, s73, v0
	v_cmp_eq_u32_e32 vcc, 0, v0
	s_waitcnt vmcnt(0) lgkmcnt(0)
	buffer_wbinvl1_vol
	s_and_saveexec_b64 s[62:63], vcc
	s_cbranch_execz .LBB6_501
; %bb.500:                              ;   in Loop: Header=BB6_403 Depth=1
	s_bcnt1_i32_b64 s72, s[72:73]
	v_mov_b32_e32 v14, s72
	ds_add_u64 v0, v[14:15]
	s_trap 2
.LBB6_501:                              ;   in Loop: Header=BB6_403 Depth=1
	s_or_b64 exec, exec, s[62:63]
	s_trap 2
	ds_read_b64 v[0:1], v0
	s_waitcnt lgkmcnt(0)
	v_add_co_u32_e32 v20, vcc, v20, v30
	v_addc_co_u32_e32 v21, vcc, 0, v21, vcc
	v_cmp_lt_u64_e32 vcc, v[0:1], v[20:21]
	s_and_saveexec_b64 s[62:63], vcc
	s_cbranch_execz .LBB6_510
; %bb.502:                              ;   in Loop: Header=BB6_403 Depth=1
	s_mov_b32 s92, 0
	s_mov_b64 s[72:73], 0
                                        ; implicit-def: $sgpr74_sgpr75
                                        ; implicit-def: $sgpr76_sgpr77
	s_branch .LBB6_504
.LBB6_503:                              ;   in Loop: Header=BB6_504 Depth=2
	s_or_b64 exec, exec, s[88:89]
	s_and_b64 s[78:79], exec, s[90:91]
	s_or_b64 s[72:73], s[78:79], s[72:73]
	s_andn2_b64 s[74:75], s[74:75], exec
	s_and_b64 s[78:79], s[76:77], exec
	s_or_b64 s[74:75], s[74:75], s[78:79]
	s_andn2_b64 exec, exec, s[72:73]
	s_cbranch_execz .LBB6_508
.LBB6_504:                              ;   Parent Loop BB6_403 Depth=1
                                        ; =>  This Inner Loop Header: Depth=2
	s_add_i32 s92, s92, 1
	s_cmpk_lg_i32 s92, 0x2710
	s_cselect_b64 s[78:79], -1, 0
	s_and_b64 vcc, exec, s[78:79]
	s_cbranch_vccz .LBB6_506
; %bb.505:                              ;   in Loop: Header=BB6_504 Depth=2
	s_mov_b64 s[90:91], -1
	s_or_b64 s[76:77], s[76:77], exec
	s_and_saveexec_b64 s[88:89], s[78:79]
	s_cbranch_execz .LBB6_503
	s_branch .LBB6_507
.LBB6_506:                              ;   in Loop: Header=BB6_504 Depth=2
	s_trap 2
	ds_read_b64 v[0:1], v0
	s_andn2_b64 s[78:79], s[78:79], exec
	s_mov_b32 s92, 0
	s_waitcnt lgkmcnt(0)
	flat_load_dword v0, v[0:1] glc
	s_waitcnt vmcnt(0) lgkmcnt(0)
	buffer_wbinvl1_vol
	v_cmp_eq_u32_e32 vcc, 0, v0
	s_and_b64 s[88:89], vcc, exec
	s_or_b64 s[78:79], s[78:79], s[88:89]
	s_mov_b64 s[90:91], -1
	s_or_b64 s[76:77], s[76:77], exec
	s_and_saveexec_b64 s[88:89], s[78:79]
	s_cbranch_execz .LBB6_503
.LBB6_507:                              ;   in Loop: Header=BB6_504 Depth=2
	s_sleep 1
	s_trap 2
	ds_read_b64 v[0:1], v0
	s_waitcnt lgkmcnt(0)
	s_andn2_b64 s[76:77], s[76:77], exec
	v_cmp_ge_u64_e32 vcc, v[0:1], v[20:21]
	s_orn2_b64 s[90:91], vcc, exec
	s_branch .LBB6_503
.LBB6_508:                              ;   in Loop: Header=BB6_403 Depth=1
	s_or_b64 exec, exec, s[72:73]
	s_and_saveexec_b64 s[72:73], s[74:75]
	s_xor_b64 s[72:73], exec, s[72:73]
	s_cbranch_execz .LBB6_510
; %bb.509:                              ;   in Loop: Header=BB6_403 Depth=1
	ds_write_b32 v0, v44
	s_trap 2
.LBB6_510:                              ;   in Loop: Header=BB6_403 Depth=1
	s_or_b64 exec, exec, s[62:63]
	;;#ASMSTART
	s_wakeup
	;;#ASMEND
.LBB6_511:                              ;   in Loop: Header=BB6_403 Depth=1
	s_or_b64 exec, exec, s[60:61]
.LBB6_512:                              ;   in Loop: Header=BB6_403 Depth=1
	s_andn2_saveexec_b64 s[58:59], s[58:59]
	s_cbranch_execz .LBB6_514
; %bb.513:                              ;   in Loop: Header=BB6_403 Depth=1
	s_waitcnt vmcnt(0) lgkmcnt(0)
	buffer_wbinvl1_vol
	s_barrier
.LBB6_514:                              ;   in Loop: Header=BB6_403 Depth=1
	s_or_b64 exec, exec, s[58:59]
.LBB6_515:                              ;   in Loop: Header=BB6_403 Depth=1
	s_or_b64 exec, exec, s[56:57]
	v_and_b32_e32 v2, 16, v54
	v_cmp_ne_u32_e32 vcc, 0, v2
	s_and_b64 s[56:57], vcc, s[20:21]
	s_and_saveexec_b64 s[20:21], s[56:57]
	s_cbranch_execz .LBB6_517
; %bb.516:                              ;   in Loop: Header=BB6_403 Depth=1
	s_waitcnt vmcnt(0) lgkmcnt(0)
	buffer_wbinvl1_vol
.LBB6_517:                              ;   in Loop: Header=BB6_403 Depth=1
	s_or_b64 exec, exec, s[20:21]
	v_cmp_ne_u32_e32 vcc, 0, v2
	s_and_saveexec_b64 s[20:21], vcc
	s_cbranch_execz .LBB6_521
; %bb.518:                              ;   in Loop: Header=BB6_403 Depth=1
	s_and_saveexec_b64 s[56:57], s[18:19]
	s_cbranch_execz .LBB6_520
; %bb.519:                              ;   in Loop: Header=BB6_403 Depth=1
	s_waitcnt vmcnt(0)
	flat_store_dword v[6:7], v44
.LBB6_520:                              ;   in Loop: Header=BB6_403 Depth=1
	s_or_b64 exec, exec, s[56:57]
	s_waitcnt vmcnt(0)
	v_add_co_u32_e32 v48, vcc, 1, v48
	v_addc_co_u32_e32 v49, vcc, 0, v49, vcc
	flat_store_dwordx2 v[18:19], v[48:49]
.LBB6_521:                              ;   in Loop: Header=BB6_403 Depth=1
	s_or_b64 exec, exec, s[20:21]
	v_mov_b32_e32 v2, v45
.LBB6_522:                              ;   in Loop: Header=BB6_403 Depth=1
	s_or_b64 exec, exec, s[46:47]
	s_and_saveexec_b64 s[46:47], s[44:45]
	s_cbranch_execz .LBB6_402
; %bb.523:                              ;   in Loop: Header=BB6_403 Depth=1
	v_sub_u32_e32 v0, v32, v2
	v_min_i32_e32 v32, v45, v0
	v_and_b32_e32 v0, 8, v54
	v_cmp_ne_u32_e32 vcc, 0, v0
	s_and_saveexec_b64 s[44:45], vcc
	s_cbranch_execz .LBB6_545
; %bb.524:                              ;   in Loop: Header=BB6_403 Depth=1
	s_waitcnt vmcnt(0)
	v_add_co_u32_e32 v0, vcc, 8, v22
	v_addc_co_u32_e32 v1, vcc, 0, v23, vcc
	s_waitcnt lgkmcnt(0)
	v_add_co_u32_e32 v34, vcc, 1, v48
	v_addc_co_u32_e32 v35, vcc, 0, v49, vcc
	v_cmp_lt_u64_e32 vcc, v[0:1], v[34:35]
	s_and_saveexec_b64 s[56:57], vcc
	s_cbranch_execz .LBB6_536
; %bb.525:                              ;   in Loop: Header=BB6_403 Depth=1
	v_and_b32_e32 v0, 64, v54
	s_mov_b32 s92, 0
	v_cmp_eq_u32_e32 vcc, 0, v0
	s_mov_b64 s[58:59], 0
                                        ; implicit-def: $sgpr60_sgpr61
                                        ; implicit-def: $sgpr62_sgpr63
                                        ; implicit-def: $sgpr72_sgpr73
	s_branch .LBB6_529
.LBB6_526:                              ;   in Loop: Header=BB6_529 Depth=2
	s_waitcnt vmcnt(0) lgkmcnt(0)
	v_add_co_u32_e64 v0, s[20:21], 8, v22
	v_addc_co_u32_e64 v1, s[20:21], 0, v23, s[20:21]
	v_cmp_ge_u64_e64 s[20:21], v[0:1], v[34:35]
	s_or_b64 s[78:79], s[78:79], exec
	s_orn2_b64 s[76:77], s[20:21], exec
.LBB6_527:                              ;   in Loop: Header=BB6_529 Depth=2
	s_or_b64 exec, exec, s[90:91]
	s_andn2_b64 s[20:21], s[72:73], exec
	s_and_b64 s[72:73], s[78:79], exec
	s_or_b64 s[72:73], s[20:21], s[72:73]
	s_andn2_b64 s[20:21], s[62:63], exec
	s_and_b64 s[62:63], s[76:77], exec
	s_or_b64 s[62:63], s[20:21], s[62:63]
.LBB6_528:                              ;   in Loop: Header=BB6_529 Depth=2
	s_or_b64 exec, exec, s[74:75]
	s_and_b64 s[20:21], exec, s[62:63]
	s_or_b64 s[58:59], s[20:21], s[58:59]
	s_andn2_b64 s[20:21], s[60:61], exec
	s_and_b64 s[60:61], s[72:73], exec
	s_or_b64 s[60:61], s[20:21], s[60:61]
	s_andn2_b64 exec, exec, s[58:59]
	s_cbranch_execz .LBB6_533
.LBB6_529:                              ;   Parent Loop BB6_403 Depth=1
                                        ; =>  This Inner Loop Header: Depth=2
	s_sleep 1
	s_waitcnt vmcnt(0) lgkmcnt(0)
	flat_load_dwordx2 v[22:23], v[18:19] glc
	s_or_b64 s[72:73], s[72:73], exec
	s_or_b64 s[62:63], s[62:63], exec
                                        ; implicit-def: $vgpr2
	s_and_saveexec_b64 s[74:75], vcc
	s_cbranch_execz .LBB6_528
; %bb.530:                              ;   in Loop: Header=BB6_529 Depth=2
	s_cmpk_lt_i32 s92, 0x270f
	s_cselect_b64 s[88:89], -1, 0
	s_cmpk_gt_i32 s92, 0x270e
	s_mov_b64 s[76:77], -1
	s_cbranch_scc0 .LBB6_532
; %bb.531:                              ;   in Loop: Header=BB6_529 Depth=2
	s_trap 2
	ds_read_b64 v[0:1], v0
	s_andn2_b64 s[88:89], s[88:89], exec
	s_mov_b32 s92, 0
	s_mov_b64 s[78:79], 0
	s_waitcnt vmcnt(0) lgkmcnt(0)
	flat_load_dword v2, v[0:1] glc
	s_waitcnt vmcnt(0) lgkmcnt(0)
	buffer_wbinvl1_vol
	v_cmp_eq_u32_e64 s[20:21], 0, v2
	s_and_b64 s[20:21], s[20:21], exec
	s_or_b64 s[88:89], s[88:89], s[20:21]
	s_and_saveexec_b64 s[90:91], s[88:89]
	s_cbranch_execz .LBB6_527
	s_branch .LBB6_526
.LBB6_532:                              ;   in Loop: Header=BB6_529 Depth=2
	s_add_i32 s92, s92, 1
	s_mov_b64 s[78:79], -1
                                        ; implicit-def: $vgpr2
	s_and_saveexec_b64 s[90:91], s[88:89]
	s_cbranch_execz .LBB6_527
	s_branch .LBB6_526
.LBB6_533:                              ;   in Loop: Header=BB6_403 Depth=1
	s_or_b64 exec, exec, s[58:59]
	s_xor_b64 s[20:21], s[60:61], -1
	s_and_saveexec_b64 s[58:59], s[20:21]
	s_xor_b64 s[20:21], exec, s[58:59]
	s_cbranch_execz .LBB6_535
; %bb.534:                              ;   in Loop: Header=BB6_403 Depth=1
	v_or_b32_e32 v54, 64, v54
	s_waitcnt lgkmcnt(0)
	ds_write_b32 v0, v2
	s_trap 2
.LBB6_535:                              ;   in Loop: Header=BB6_403 Depth=1
	s_or_b64 exec, exec, s[20:21]
.LBB6_536:                              ;   in Loop: Header=BB6_403 Depth=1
	s_or_b64 exec, exec, s[56:57]
	v_and_b32_e32 v0, 0x100, v54
	v_cmp_ne_u32_e32 vcc, 0, v0
	v_and_b32_e32 v2, 7, v48
	s_mov_b64 s[20:21], -1
	;;#ASMSTART
	s_wakeup
	;;#ASMEND
                                        ; implicit-def: $vgpr8_vgpr9
	s_and_saveexec_b64 s[56:57], vcc
	s_cbranch_execz .LBB6_540
; %bb.537:                              ;   in Loop: Header=BB6_403 Depth=1
	v_mad_u64_u32 v[36:37], s[20:21], v2, 24, v[46:47]
	v_ashrrev_i32_e32 v33, 31, v32
	v_lshlrev_b64 v[0:1], 1, v[32:33]
	flat_load_dword v3, v[36:37]
                                        ; implicit-def: $vgpr8_vgpr9
	s_waitcnt vmcnt(0) lgkmcnt(0)
	v_cmp_ne_u32_e32 vcc, 1, v3
	v_cmp_eq_u32_e64 s[20:21], 1, v3
	flat_store_dwordx2 v[36:37], v[0:1] offset:8
	s_and_saveexec_b64 s[58:59], s[20:21]
	s_cbranch_execz .LBB6_539
; %bb.538:                              ;   in Loop: Header=BB6_403 Depth=1
	flat_load_dword v0, v[36:37] offset:4 glc
	s_waitcnt vmcnt(0) lgkmcnt(0)
	v_ashrrev_i32_e32 v1, 31, v0
	v_lshrrev_b64 v[8:9], 1, v[0:1]
.LBB6_539:                              ;   in Loop: Header=BB6_403 Depth=1
	s_or_b64 exec, exec, s[58:59]
	s_orn2_b64 s[20:21], vcc, exec
.LBB6_540:                              ;   in Loop: Header=BB6_403 Depth=1
	s_or_b64 exec, exec, s[56:57]
	s_and_saveexec_b64 s[56:57], s[20:21]
; %bb.541:                              ;   in Loop: Header=BB6_403 Depth=1
	v_mad_i64_i32 v[8:9], s[20:21], v2, v59, 0
; %bb.542:                              ;   in Loop: Header=BB6_403 Depth=1
	s_or_b64 exec, exec, s[56:57]
	v_lshlrev_b64 v[0:1], 1, v[8:9]
	v_add_co_u32_e32 v0, vcc, v10, v0
	v_addc_co_u32_e32 v1, vcc, v11, v1, vcc
	ds_write_b64 v0, v[0:1] offset:784
	v_and_b32_e32 v0, 0x2000, v54
	v_cmp_ne_u32_e32 vcc, 0, v0
	s_and_saveexec_b64 s[20:21], vcc
	s_cbranch_execz .LBB6_544
; %bb.543:                              ;   in Loop: Header=BB6_403 Depth=1
	ds_read_b64 v[0:1], v0 offset:872
	s_waitcnt lgkmcnt(0)
	v_add_co_u32_e32 v0, vcc, 1, v0
	v_addc_co_u32_e32 v1, vcc, 0, v1, vcc
	ds_write_b64 v0, v[0:1] offset:872
.LBB6_544:                              ;   in Loop: Header=BB6_403 Depth=1
	s_or_b64 exec, exec, s[20:21]
	v_mov_b32_e32 v49, v35
	v_mov_b32_e32 v48, v34
.LBB6_545:                              ;   in Loop: Header=BB6_403 Depth=1
	s_or_b64 exec, exec, s[44:45]
	s_and_saveexec_b64 s[20:21], s[10:11]
	s_cbranch_execz .LBB6_564
; %bb.546:                              ;   in Loop: Header=BB6_403 Depth=1
	s_and_saveexec_b64 s[44:45], s[28:29]
	s_xor_b64 s[44:45], exec, s[44:45]
	s_cbranch_execz .LBB6_561
; %bb.547:                              ;   in Loop: Header=BB6_403 Depth=1
	s_and_saveexec_b64 s[56:57], s[12:13]
	s_cbranch_execz .LBB6_560
; %bb.548:                              ;   in Loop: Header=BB6_403 Depth=1
	s_mov_b64 s[60:61], exec
	v_mbcnt_lo_u32_b32 v0, s60, 0
	v_mbcnt_hi_u32_b32 v0, s61, v0
	v_cmp_eq_u32_e32 vcc, 0, v0
	s_waitcnt vmcnt(0) lgkmcnt(0)
	buffer_wbinvl1_vol
	s_and_saveexec_b64 s[58:59], vcc
	s_cbranch_execz .LBB6_550
; %bb.549:                              ;   in Loop: Header=BB6_403 Depth=1
	s_bcnt1_i32_b64 s60, s[60:61]
	v_mov_b32_e32 v14, s60
	ds_add_u64 v0, v[14:15]
	s_trap 2
.LBB6_550:                              ;   in Loop: Header=BB6_403 Depth=1
	s_or_b64 exec, exec, s[58:59]
	s_trap 2
	ds_read_b64 v[0:1], v0
	s_waitcnt lgkmcnt(0)
	v_add_co_u32_e32 v20, vcc, v20, v30
	v_addc_co_u32_e32 v21, vcc, 0, v21, vcc
	v_cmp_lt_u64_e32 vcc, v[0:1], v[20:21]
	s_and_saveexec_b64 s[58:59], vcc
	s_cbranch_execz .LBB6_559
; %bb.551:                              ;   in Loop: Header=BB6_403 Depth=1
	s_mov_b32 s88, 0
	s_mov_b64 s[60:61], 0
                                        ; implicit-def: $sgpr62_sgpr63
                                        ; implicit-def: $sgpr72_sgpr73
	s_branch .LBB6_553
.LBB6_552:                              ;   in Loop: Header=BB6_553 Depth=2
	s_or_b64 exec, exec, s[76:77]
	s_and_b64 s[74:75], exec, s[78:79]
	s_or_b64 s[60:61], s[74:75], s[60:61]
	s_andn2_b64 s[62:63], s[62:63], exec
	s_and_b64 s[74:75], s[72:73], exec
	s_or_b64 s[62:63], s[62:63], s[74:75]
	s_andn2_b64 exec, exec, s[60:61]
	s_cbranch_execz .LBB6_557
.LBB6_553:                              ;   Parent Loop BB6_403 Depth=1
                                        ; =>  This Inner Loop Header: Depth=2
	s_add_i32 s88, s88, 1
	s_cmpk_lg_i32 s88, 0x2710
	s_cselect_b64 s[74:75], -1, 0
	s_and_b64 vcc, exec, s[74:75]
	s_cbranch_vccz .LBB6_555
; %bb.554:                              ;   in Loop: Header=BB6_553 Depth=2
	s_mov_b64 s[78:79], -1
	s_or_b64 s[72:73], s[72:73], exec
	s_and_saveexec_b64 s[76:77], s[74:75]
	s_cbranch_execz .LBB6_552
	s_branch .LBB6_556
.LBB6_555:                              ;   in Loop: Header=BB6_553 Depth=2
	s_trap 2
	ds_read_b64 v[0:1], v0
	s_andn2_b64 s[74:75], s[74:75], exec
	s_mov_b32 s88, 0
	s_waitcnt lgkmcnt(0)
	flat_load_dword v0, v[0:1] glc
	s_waitcnt vmcnt(0) lgkmcnt(0)
	buffer_wbinvl1_vol
	v_cmp_eq_u32_e32 vcc, 0, v0
	s_and_b64 s[76:77], vcc, exec
	s_or_b64 s[74:75], s[74:75], s[76:77]
	s_mov_b64 s[78:79], -1
	s_or_b64 s[72:73], s[72:73], exec
	s_and_saveexec_b64 s[76:77], s[74:75]
	s_cbranch_execz .LBB6_552
.LBB6_556:                              ;   in Loop: Header=BB6_553 Depth=2
	s_sleep 1
	s_trap 2
	ds_read_b64 v[0:1], v0
	s_waitcnt lgkmcnt(0)
	s_andn2_b64 s[72:73], s[72:73], exec
	v_cmp_ge_u64_e32 vcc, v[0:1], v[20:21]
	s_orn2_b64 s[78:79], vcc, exec
	s_branch .LBB6_552
.LBB6_557:                              ;   in Loop: Header=BB6_403 Depth=1
	s_or_b64 exec, exec, s[60:61]
	s_and_saveexec_b64 s[60:61], s[62:63]
	s_xor_b64 s[60:61], exec, s[60:61]
	s_cbranch_execz .LBB6_559
; %bb.558:                              ;   in Loop: Header=BB6_403 Depth=1
	ds_write_b32 v0, v44
	s_trap 2
.LBB6_559:                              ;   in Loop: Header=BB6_403 Depth=1
	s_or_b64 exec, exec, s[58:59]
	;;#ASMSTART
	s_wakeup
	;;#ASMEND
.LBB6_560:                              ;   in Loop: Header=BB6_403 Depth=1
	s_or_b64 exec, exec, s[56:57]
.LBB6_561:                              ;   in Loop: Header=BB6_403 Depth=1
	s_andn2_saveexec_b64 s[44:45], s[44:45]
	s_cbranch_execz .LBB6_563
; %bb.562:                              ;   in Loop: Header=BB6_403 Depth=1
	s_waitcnt vmcnt(0) lgkmcnt(0)
	buffer_wbinvl1_vol
	s_barrier
.LBB6_563:                              ;   in Loop: Header=BB6_403 Depth=1
	s_or_b64 exec, exec, s[44:45]
.LBB6_564:                              ;   in Loop: Header=BB6_403 Depth=1
	s_or_b64 exec, exec, s[20:21]
	s_trap 2
	ds_read_b32 v0, v0
	v_cmp_lt_i32_e32 vcc, 0, v32
	v_and_b32_e32 v2, 16, v54
	s_waitcnt lgkmcnt(0)
	v_readfirstlane_b32 s20, v0
	s_cmp_eq_u32 s20, 0
	s_cselect_b64 s[20:21], -1, 0
	s_and_b64 s[20:21], vcc, s[20:21]
	v_cmp_ne_u32_e32 vcc, 0, v2
	s_and_b64 s[44:45], vcc, s[20:21]
	s_and_saveexec_b64 s[20:21], s[44:45]
	s_cbranch_execz .LBB6_566
; %bb.565:                              ;   in Loop: Header=BB6_403 Depth=1
	s_waitcnt vmcnt(0)
	buffer_wbinvl1_vol
.LBB6_566:                              ;   in Loop: Header=BB6_403 Depth=1
	s_or_b64 exec, exec, s[20:21]
	v_cmp_ne_u32_e32 vcc, 0, v2
	s_and_saveexec_b64 s[20:21], vcc
	s_cbranch_execz .LBB6_401
; %bb.567:                              ;   in Loop: Header=BB6_403 Depth=1
	s_and_saveexec_b64 s[44:45], s[18:19]
	s_cbranch_execz .LBB6_400
; %bb.568:                              ;   in Loop: Header=BB6_403 Depth=1
	s_waitcnt vmcnt(0)
	flat_store_dword v[6:7], v44
	s_branch .LBB6_400
.LBB6_569:
	s_or_b64 exec, exec, s[40:41]
	buffer_load_dword v14, off, s[0:3], s33 offset:132 ; 4-byte Folded Reload
	buffer_load_dword v31, off, s[0:3], s33 offset:136 ; 4-byte Folded Reload
	;; [unrolled: 1-line block ×5, first 2 shown]
.LBB6_570:
	s_or_b64 exec, exec, s[26:27]
.LBB6_571:
	s_or_b64 exec, exec, s[24:25]
	v_and_b32_e32 v0, 0x800, v54
	v_cmp_eq_u32_e32 vcc, 0, v0
	s_and_saveexec_b64 s[6:7], vcc
	s_cbranch_execz .LBB6_604
; %bb.572:
	v_and_b32_e32 v0, 48, v54
	v_cmp_ne_u32_e32 vcc, 0, v0
	s_and_saveexec_b64 s[4:5], vcc
	s_cbranch_execz .LBB6_574
; %bb.573:
	s_waitcnt vmcnt(0) lgkmcnt(0)
	flat_store_dwordx2 v[43:44], v[48:49] offset:104
.LBB6_574:
	s_or_b64 exec, exec, s[4:5]
	s_movk_i32 s4, 0x88
	v_and_b32_e32 v0, 0x88, v54
	v_cmp_eq_u32_e32 vcc, s4, v0
	s_and_saveexec_b64 s[10:11], vcc
	s_cbranch_execz .LBB6_584
; %bb.575:
	s_waitcnt lgkmcnt(0)
	v_add_u32_e32 v0, -1, v48
	v_and_b32_e32 v0, 7, v0
	v_mad_u64_u32 v[4:5], s[4:5], v0, 24, v[46:47]
	v_and_b32_e32 v2, 64, v54
	v_cmp_eq_u32_e64 s[4:5], 0, v2
	flat_load_dwordx2 v[0:1], v[4:5] offset:8 glc
	s_waitcnt vmcnt(0)
	s_mov_b32 s24, 0
	s_waitcnt lgkmcnt(0)
	v_cmp_ne_u64_e32 vcc, -1, v[0:1]
	s_and_b64 s[4:5], vcc, s[4:5]
	s_and_b64 exec, exec, s[4:5]
	s_cbranch_execz .LBB6_584
; %bb.576:
	s_mov_b64 s[4:5], 0
                                        ; implicit-def: $sgpr12_sgpr13
                                        ; implicit-def: $sgpr14_sgpr15
	s_branch .LBB6_579
.LBB6_577:                              ;   in Loop: Header=BB6_579 Depth=1
	flat_load_dwordx2 v[1:2], v[4:5] offset:8 glc
	s_waitcnt vmcnt(0)
	s_andn2_b64 s[14:15], s[14:15], exec
	s_waitcnt lgkmcnt(0)
	v_cmp_eq_u64_e32 vcc, -1, v[1:2]
	s_orn2_b64 s[18:19], vcc, exec
.LBB6_578:                              ;   in Loop: Header=BB6_579 Depth=1
	s_or_b64 exec, exec, s[20:21]
	s_and_b64 s[16:17], exec, s[18:19]
	s_or_b64 s[4:5], s[16:17], s[4:5]
	s_andn2_b64 s[12:13], s[12:13], exec
	s_and_b64 s[16:17], s[14:15], exec
	s_or_b64 s[12:13], s[12:13], s[16:17]
	s_andn2_b64 exec, exec, s[4:5]
	s_cbranch_execz .LBB6_582
.LBB6_579:                              ; =>This Inner Loop Header: Depth=1
	s_cmpk_lt_i32 s24, 0x270f
	s_cselect_b64 s[16:17], -1, 0
	s_and_b64 vcc, exec, s[16:17]
	s_cbranch_vccnz .LBB6_581
; %bb.580:                              ;   in Loop: Header=BB6_579 Depth=1
	s_trap 2
	ds_read_b64 v[0:1], v0
	s_andn2_b64 s[16:17], s[16:17], exec
	s_mov_b32 s24, 0
	s_waitcnt lgkmcnt(0)
	flat_load_dword v0, v[0:1] glc
	s_waitcnt vmcnt(0) lgkmcnt(0)
	buffer_wbinvl1_vol
	v_cmp_eq_u32_e32 vcc, 0, v0
	s_and_b64 s[18:19], vcc, exec
	s_or_b64 s[16:17], s[16:17], s[18:19]
	s_mov_b64 s[18:19], -1
	s_or_b64 s[14:15], s[14:15], exec
	s_and_saveexec_b64 s[20:21], s[16:17]
	s_cbranch_execz .LBB6_578
	s_branch .LBB6_577
.LBB6_581:                              ;   in Loop: Header=BB6_579 Depth=1
	s_add_i32 s24, s24, 1
                                        ; implicit-def: $vgpr0
	s_mov_b64 s[18:19], -1
	s_or_b64 s[14:15], s[14:15], exec
	s_and_saveexec_b64 s[20:21], s[16:17]
	s_cbranch_execz .LBB6_578
	s_branch .LBB6_577
.LBB6_582:
	s_or_b64 exec, exec, s[4:5]
	s_and_saveexec_b64 s[4:5], s[12:13]
	s_xor_b64 s[4:5], exec, s[4:5]
	s_cbranch_execz .LBB6_584
; %bb.583:
	ds_write_b32 v0, v0
	s_trap 2
.LBB6_584:
	s_or_b64 exec, exec, s[10:11]
	v_and_b32_e32 v0, 0x2000, v54
	v_cmp_ne_u32_e32 vcc, 0, v0
	s_and_saveexec_b64 s[4:5], vcc
	s_cbranch_execz .LBB6_586
; %bb.585:
	s_trap 2
	ds_read_b64 v[0:1], v0
	buffer_load_dword v2, off, s[0:3], s33 offset:176 ; 4-byte Folded Reload
	buffer_load_dword v3, off, s[0:3], s33 offset:180 ; 4-byte Folded Reload
	s_waitcnt vmcnt(0) lgkmcnt(0)
	flat_store_dwordx2 v[2:3], v[0:1] offset:16
.LBB6_586:
	s_or_b64 exec, exec, s[4:5]
	s_waitcnt vmcnt(0)
	v_cmp_ne_u32_e32 vcc, 64, v14
	s_and_b64 exec, exec, vcc
	s_cbranch_execz .LBB6_604
; %bb.587:
	v_cmp_ne_u32_sdwa s[4:5], v14, v15 src0_sel:DWORD src1_sel:WORD_0
	s_and_saveexec_b64 s[10:11], s[4:5]
	s_xor_b64 s[4:5], exec, s[10:11]
	s_cbranch_execz .LBB6_602
; %bb.588:
	v_and_b32_e32 v0, 63, v31
	v_cmp_eq_u32_e32 vcc, 0, v0
	s_and_saveexec_b64 s[10:11], vcc
	s_cbranch_execz .LBB6_601
; %bb.589:
	s_mov_b64 s[14:15], exec
	v_mbcnt_lo_u32_b32 v0, s14, 0
	v_mbcnt_hi_u32_b32 v0, s15, v0
	v_cmp_eq_u32_e32 vcc, 0, v0
	s_waitcnt lgkmcnt(0)
	buffer_wbinvl1_vol
	s_and_saveexec_b64 s[12:13], vcc
	s_cbranch_execz .LBB6_591
; %bb.590:
	s_bcnt1_i32_b64 s14, s[14:15]
	v_mov_b32_e32 v0, s14
	v_mov_b32_e32 v1, 0
	ds_add_u64 v0, v[0:1]
	s_trap 2
.LBB6_591:
	s_or_b64 exec, exec, s[12:13]
	v_lshrrev_b32_e32 v0, 6, v14
	s_trap 2
	ds_read_b64 v[2:3], v0
	s_waitcnt lgkmcnt(0)
	v_add_co_u32_e32 v0, vcc, v20, v0
	v_addc_co_u32_e32 v1, vcc, 0, v21, vcc
	v_cmp_lt_u64_e32 vcc, v[2:3], v[0:1]
	s_and_saveexec_b64 s[12:13], vcc
	s_cbranch_execz .LBB6_600
; %bb.592:
	s_mov_b32 s28, 0
	s_mov_b64 s[14:15], 0
                                        ; implicit-def: $sgpr16_sgpr17
                                        ; implicit-def: $sgpr18_sgpr19
	s_branch .LBB6_594
.LBB6_593:                              ;   in Loop: Header=BB6_594 Depth=1
	s_or_b64 exec, exec, s[24:25]
	s_and_b64 s[20:21], exec, s[26:27]
	s_or_b64 s[14:15], s[20:21], s[14:15]
	s_andn2_b64 s[16:17], s[16:17], exec
	s_and_b64 s[20:21], s[18:19], exec
	s_or_b64 s[16:17], s[16:17], s[20:21]
	s_andn2_b64 exec, exec, s[14:15]
	s_cbranch_execz .LBB6_598
.LBB6_594:                              ; =>This Inner Loop Header: Depth=1
	s_add_i32 s28, s28, 1
	s_cmpk_lg_i32 s28, 0x2710
	s_cselect_b64 s[20:21], -1, 0
	s_and_b64 vcc, exec, s[20:21]
	s_cbranch_vccz .LBB6_596
; %bb.595:                              ;   in Loop: Header=BB6_594 Depth=1
	s_mov_b64 s[26:27], -1
	s_or_b64 s[18:19], s[18:19], exec
	s_and_saveexec_b64 s[24:25], s[20:21]
	s_cbranch_execz .LBB6_593
	s_branch .LBB6_597
.LBB6_596:                              ;   in Loop: Header=BB6_594 Depth=1
	s_trap 2
	ds_read_b64 v[2:3], v0
	s_andn2_b64 s[20:21], s[20:21], exec
	s_mov_b32 s28, 0
	s_waitcnt lgkmcnt(0)
	flat_load_dword v2, v[2:3] glc
	s_waitcnt vmcnt(0) lgkmcnt(0)
	buffer_wbinvl1_vol
	v_cmp_eq_u32_e32 vcc, 0, v2
	s_and_b64 s[24:25], vcc, exec
	s_or_b64 s[20:21], s[20:21], s[24:25]
	s_mov_b64 s[26:27], -1
	s_or_b64 s[18:19], s[18:19], exec
	s_and_saveexec_b64 s[24:25], s[20:21]
	s_cbranch_execz .LBB6_593
.LBB6_597:                              ;   in Loop: Header=BB6_594 Depth=1
	s_sleep 1
	s_trap 2
	ds_read_b64 v[2:3], v0
	s_waitcnt lgkmcnt(0)
	s_andn2_b64 s[18:19], s[18:19], exec
	v_cmp_ge_u64_e32 vcc, v[2:3], v[0:1]
	s_orn2_b64 s[26:27], vcc, exec
	s_branch .LBB6_593
.LBB6_598:
	s_or_b64 exec, exec, s[14:15]
	s_and_saveexec_b64 s[14:15], s[16:17]
	s_xor_b64 s[14:15], exec, s[14:15]
	s_cbranch_execz .LBB6_600
; %bb.599:
	v_mov_b32_e32 v0, 1
	ds_write_b32 v0, v0
	s_trap 2
.LBB6_600:
	s_or_b64 exec, exec, s[12:13]
	;;#ASMSTART
	s_wakeup
	;;#ASMEND
.LBB6_601:
	s_or_b64 exec, exec, s[10:11]
.LBB6_602:
	s_andn2_saveexec_b64 s[4:5], s[4:5]
	s_cbranch_execz .LBB6_604
; %bb.603:
	s_waitcnt lgkmcnt(0)
	buffer_wbinvl1_vol
	s_barrier
.LBB6_604:
	s_or_b64 exec, exec, s[6:7]
.LBB6_605:
	s_andn2_saveexec_b64 s[26:27], s[22:23]
	s_cbranch_execz .LBB6_607
; %bb.606:
	s_getpc_b64 s[4:5]
	s_add_u32 s4, s4, __PRETTY_FUNCTION__._ZN10PrimitivesI6__half7FuncSumIS0_E12FanSymmetricILi1EELi0E11ProtoSimpleILi1ELi1ELi0ELi4ELi0ELi0EELi0ELb0ELi0ELi0ELi0EEC2EiiPKiS9_PKvPvmhhhP15ncclDevWorkCollP14ncclDevWorkP2pii@rel32@lo+4
	s_addc_u32 s5, s5, __PRETTY_FUNCTION__._ZN10PrimitivesI6__half7FuncSumIS0_E12FanSymmetricILi1EELi0E11ProtoSimpleILi1ELi1ELi0ELi4ELi0ELi0EELi0ELb0ELi0ELi0ELi0EEC2EiiPKiS9_PKvPvmhhhP15ncclDevWorkCollP14ncclDevWorkP2pii@rel32@hi+12
	s_getpc_b64 s[6:7]
	s_add_u32 s6, s6, __assert_fail@rel32@lo+4
	s_addc_u32 s7, s7, __assert_fail@rel32@hi+12
	v_mov_b32_e32 v0, s4
	v_mov_b32_e32 v1, s5
	s_swappc_b64 s[30:31], s[6:7]
	; divergent unreachable
.LBB6_607:
	s_or_b64 exec, exec, s[26:27]
	buffer_load_dword v62, off, s[0:3], s33 ; 4-byte Folded Reload
	buffer_load_dword v61, off, s[0:3], s33 offset:4 ; 4-byte Folded Reload
	buffer_load_dword v60, off, s[0:3], s33 offset:8 ; 4-byte Folded Reload
	;; [unrolled: 1-line block ×14, first 2 shown]
	v_readlane_b32 s30, v63, 17
	v_readlane_b32 s31, v63, 18
	;; [unrolled: 1-line block ×19, first 2 shown]
	s_mov_b32 s32, s33
	v_readlane_b32 s4, v63, 19
	s_or_saveexec_b64 s[6:7], -1
	buffer_load_dword v63, off, s[0:3], s33 offset:204 ; 4-byte Folded Reload
	s_mov_b64 exec, s[6:7]
	s_mov_b32 s33, s4
	s_waitcnt vmcnt(0) lgkmcnt(0)
	s_setpc_b64 s[30:31]
.Lfunc_end6:
	.size	_ZN12_GLOBAL__N_17runRingI6__half7FuncSumIS1_E11ProtoSimpleILi1ELi1ELi0ELi4ELi0ELi0EELi0ELi4ELi0EEEviiP15ncclDevWorkColl, .Lfunc_end6-_ZN12_GLOBAL__N_17runRingI6__half7FuncSumIS1_E11ProtoSimpleILi1ELi1ELi0ELi4ELi0ELi0EELi0ELi4ELi0EEEviiP15ncclDevWorkColl
                                        ; -- End function
	.set .L_ZN12_GLOBAL__N_17runRingI6__half7FuncSumIS1_E11ProtoSimpleILi1ELi1ELi0ELi4ELi0ELi0EELi0ELi4ELi0EEEviiP15ncclDevWorkColl.num_vgpr, max(64, .L__assert_fail.num_vgpr)
	.set .L_ZN12_GLOBAL__N_17runRingI6__half7FuncSumIS1_E11ProtoSimpleILi1ELi1ELi0ELi4ELi0ELi0EELi0ELi4ELi0EEEviiP15ncclDevWorkColl.num_agpr, max(0, .L__assert_fail.num_agpr)
	.set .L_ZN12_GLOBAL__N_17runRingI6__half7FuncSumIS1_E11ProtoSimpleILi1ELi1ELi0ELi4ELi0ELi0EELi0ELi4ELi0EEEviiP15ncclDevWorkColl.numbered_sgpr, max(96, .L__assert_fail.numbered_sgpr)
	.set .L_ZN12_GLOBAL__N_17runRingI6__half7FuncSumIS1_E11ProtoSimpleILi1ELi1ELi0ELi4ELi0ELi0EELi0ELi4ELi0EEEviiP15ncclDevWorkColl.num_named_barrier, max(0, .L__assert_fail.num_named_barrier)
	.set .L_ZN12_GLOBAL__N_17runRingI6__half7FuncSumIS1_E11ProtoSimpleILi1ELi1ELi0ELi4ELi0ELi0EELi0ELi4ELi0EEEviiP15ncclDevWorkColl.private_seg_size, 224+max(.L__assert_fail.private_seg_size)
	.set .L_ZN12_GLOBAL__N_17runRingI6__half7FuncSumIS1_E11ProtoSimpleILi1ELi1ELi0ELi4ELi0ELi0EELi0ELi4ELi0EEEviiP15ncclDevWorkColl.uses_vcc, or(1, .L__assert_fail.uses_vcc)
	.set .L_ZN12_GLOBAL__N_17runRingI6__half7FuncSumIS1_E11ProtoSimpleILi1ELi1ELi0ELi4ELi0ELi0EELi0ELi4ELi0EEEviiP15ncclDevWorkColl.uses_flat_scratch, or(0, .L__assert_fail.uses_flat_scratch)
	.set .L_ZN12_GLOBAL__N_17runRingI6__half7FuncSumIS1_E11ProtoSimpleILi1ELi1ELi0ELi4ELi0ELi0EELi0ELi4ELi0EEEviiP15ncclDevWorkColl.has_dyn_sized_stack, or(0, .L__assert_fail.has_dyn_sized_stack)
	.set .L_ZN12_GLOBAL__N_17runRingI6__half7FuncSumIS1_E11ProtoSimpleILi1ELi1ELi0ELi4ELi0ELi0EELi0ELi4ELi0EEEviiP15ncclDevWorkColl.has_recursion, or(1, .L__assert_fail.has_recursion)
	.set .L_ZN12_GLOBAL__N_17runRingI6__half7FuncSumIS1_E11ProtoSimpleILi1ELi1ELi0ELi4ELi0ELi0EELi0ELi4ELi0EEEviiP15ncclDevWorkColl.has_indirect_call, or(0, .L__assert_fail.has_indirect_call)
	.section	.AMDGPU.csdata,"",@progbits
; Function info:
; codeLenInByte = 22332
; TotalNumSgprs: 100
; NumVgprs: 64
; ScratchSize: 288
; MemoryBound: 1
	.text
	.p2align	2                               ; -- Begin function _Z44ncclDevFunc_Reduce_RING_SIMPLE_Sum_f16_0_0_4v
	.type	_Z44ncclDevFunc_Reduce_RING_SIMPLE_Sum_f16_0_0_4v,@function
_Z44ncclDevFunc_Reduce_RING_SIMPLE_Sum_f16_0_0_4v: ; @_Z44ncclDevFunc_Reduce_RING_SIMPLE_Sum_f16_0_0_4v
; %bb.0:
	s_waitcnt vmcnt(0) expcnt(0) lgkmcnt(0)
	s_mov_b32 s4, s33
	s_mov_b32 s33, s32
	s_or_saveexec_b64 s[6:7], -1
	buffer_store_dword v43, off, s[0:3], s33 offset:16 ; 4-byte Folded Spill
	s_mov_b64 exec, s[6:7]
	v_writelane_b32 v43, s4, 25
	s_addk_i32 s32, 0x800
	buffer_store_dword v40, off, s[0:3], s33 offset:12 ; 4-byte Folded Spill
	buffer_store_dword v41, off, s[0:3], s33 offset:8 ; 4-byte Folded Spill
	;; [unrolled: 1-line block ×3, first 2 shown]
	buffer_store_dword v63, off, s[0:3], s33 ; 4-byte Folded Spill
	v_writelane_b32 v43, s34, 0
	v_writelane_b32 v43, s35, 1
	;; [unrolled: 1-line block ×25, first 2 shown]
	s_trap 2
	ds_read_b32 v0, v0
	v_mov_b32_e32 v40, v31
	s_mov_b32 s67, s12
	s_mov_b64 s[68:69], s[8:9]
	s_waitcnt lgkmcnt(0)
	v_cmp_gt_i32_e32 vcc, 1, v0
	s_cbranch_vccnz .LBB7_8
; %bb.1:
	s_mov_b32 s80, 0
	v_and_b32_e32 v41, 0x3ff, v40
	v_mov_b32_e32 v42, 6
	s_branch .LBB7_3
.LBB7_2:                                ;   in Loop: Header=BB7_3 Depth=1
	s_or_b64 exec, exec, s[70:71]
	s_trap 2
	ds_read_b32 v0, v0
	s_add_i32 s80, s80, 1
	s_waitcnt lgkmcnt(0)
	v_cmp_lt_i32_e32 vcc, s80, v0
	s_cbranch_vccz .LBB7_8
.LBB7_3:                                ; =>This Inner Loop Header: Depth=1
	s_trap 2
	ds_read_b32 v0, v0
	s_cmp_eq_u32 s80, 0
	s_cbranch_scc1 .LBB7_6
; %bb.4:                                ;   in Loop: Header=BB7_3 Depth=1
	s_trap 2
	s_waitcnt lgkmcnt(0)
	ds_read_b32 v1, v0
	s_waitcnt lgkmcnt(0)
	v_xor_b32_e32 v1, v1, v0
	v_and_b32_e32 v1, 0xff0000, v1
	v_cmp_eq_u32_e32 vcc, 0, v1
	s_cbranch_vccnz .LBB7_6
; %bb.5:                                ;   in Loop: Header=BB7_3 Depth=1
	s_waitcnt vmcnt(0)
	s_barrier
	ds_read_b32 v0, v0
.LBB7_6:                                ;   in Loop: Header=BB7_3 Depth=1
	s_waitcnt lgkmcnt(0)
	v_lshlrev_b32_sdwa v1, v42, v0 dst_sel:DWORD dst_unused:UNUSED_PAD src0_sel:DWORD src1_sel:BYTE_2
	v_cmp_lt_u32_e32 vcc, v41, v1
	s_and_saveexec_b64 s[70:71], vcc
	s_cbranch_execz .LBB7_2
; %bb.7:                                ;   in Loop: Header=BB7_3 Depth=1
	s_mov_b64 s[4:5], src_shared_base
	s_getpc_b64 s[6:7]
	s_add_u32 s6, s6, _ZN12_GLOBAL__N_17runRingI6__half7FuncSumIS1_E11ProtoSimpleILi1ELi1ELi0ELi4ELi0ELi0EELi0ELi4ELi0EEEviiP15ncclDevWorkColl@rel32@lo+4
	s_addc_u32 s7, s7, _ZN12_GLOBAL__N_17runRingI6__half7FuncSumIS1_E11ProtoSimpleILi1ELi1ELi0ELi4ELi0ELi0EELi0ELi4ELi0EEEviiP15ncclDevWorkColl@rel32@hi+12
	s_mov_b64 s[8:9], s[68:69]
	s_mov_b32 s12, s67
	v_mov_b32_e32 v31, v40
	v_mov_b32_e32 v0, v41
	;; [unrolled: 1-line block ×3, first 2 shown]
	s_swappc_b64 s[30:31], s[6:7]
	s_branch .LBB7_2
.LBB7_8:
	buffer_load_dword v63, off, s[0:3], s33 ; 4-byte Folded Reload
	buffer_load_dword v42, off, s[0:3], s33 offset:4 ; 4-byte Folded Reload
	buffer_load_dword v41, off, s[0:3], s33 offset:8 ; 4-byte Folded Reload
	;; [unrolled: 1-line block ×3, first 2 shown]
	v_readlane_b32 s30, v43, 23
	v_readlane_b32 s31, v43, 24
	;; [unrolled: 1-line block ×25, first 2 shown]
	s_mov_b32 s32, s33
	v_readlane_b32 s4, v43, 25
	s_or_saveexec_b64 s[6:7], -1
	buffer_load_dword v43, off, s[0:3], s33 offset:16 ; 4-byte Folded Reload
	s_mov_b64 exec, s[6:7]
	s_mov_b32 s33, s4
	s_waitcnt vmcnt(0)
	s_setpc_b64 s[30:31]
.Lfunc_end7:
	.size	_Z44ncclDevFunc_Reduce_RING_SIMPLE_Sum_f16_0_0_4v, .Lfunc_end7-_Z44ncclDevFunc_Reduce_RING_SIMPLE_Sum_f16_0_0_4v
                                        ; -- End function
	.set .L_Z44ncclDevFunc_Reduce_RING_SIMPLE_Sum_f16_0_0_4v.num_vgpr, max(64, .L_ZN12_GLOBAL__N_17runRingI6__half7FuncSumIS1_E11ProtoSimpleILi1ELi1ELi0ELi4ELi0ELi0EELi0ELi4ELi0EEEviiP15ncclDevWorkColl.num_vgpr)
	.set .L_Z44ncclDevFunc_Reduce_RING_SIMPLE_Sum_f16_0_0_4v.num_agpr, max(0, .L_ZN12_GLOBAL__N_17runRingI6__half7FuncSumIS1_E11ProtoSimpleILi1ELi1ELi0ELi4ELi0ELi0EELi0ELi4ELi0EEEviiP15ncclDevWorkColl.num_agpr)
	.set .L_Z44ncclDevFunc_Reduce_RING_SIMPLE_Sum_f16_0_0_4v.numbered_sgpr, max(81, .L_ZN12_GLOBAL__N_17runRingI6__half7FuncSumIS1_E11ProtoSimpleILi1ELi1ELi0ELi4ELi0ELi0EELi0ELi4ELi0EEEviiP15ncclDevWorkColl.numbered_sgpr)
	.set .L_Z44ncclDevFunc_Reduce_RING_SIMPLE_Sum_f16_0_0_4v.num_named_barrier, max(0, .L_ZN12_GLOBAL__N_17runRingI6__half7FuncSumIS1_E11ProtoSimpleILi1ELi1ELi0ELi4ELi0ELi0EELi0ELi4ELi0EEEviiP15ncclDevWorkColl.num_named_barrier)
	.set .L_Z44ncclDevFunc_Reduce_RING_SIMPLE_Sum_f16_0_0_4v.private_seg_size, 32+max(.L_ZN12_GLOBAL__N_17runRingI6__half7FuncSumIS1_E11ProtoSimpleILi1ELi1ELi0ELi4ELi0ELi0EELi0ELi4ELi0EEEviiP15ncclDevWorkColl.private_seg_size)
	.set .L_Z44ncclDevFunc_Reduce_RING_SIMPLE_Sum_f16_0_0_4v.uses_vcc, or(1, .L_ZN12_GLOBAL__N_17runRingI6__half7FuncSumIS1_E11ProtoSimpleILi1ELi1ELi0ELi4ELi0ELi0EELi0ELi4ELi0EEEviiP15ncclDevWorkColl.uses_vcc)
	.set .L_Z44ncclDevFunc_Reduce_RING_SIMPLE_Sum_f16_0_0_4v.uses_flat_scratch, or(0, .L_ZN12_GLOBAL__N_17runRingI6__half7FuncSumIS1_E11ProtoSimpleILi1ELi1ELi0ELi4ELi0ELi0EELi0ELi4ELi0EEEviiP15ncclDevWorkColl.uses_flat_scratch)
	.set .L_Z44ncclDevFunc_Reduce_RING_SIMPLE_Sum_f16_0_0_4v.has_dyn_sized_stack, or(0, .L_ZN12_GLOBAL__N_17runRingI6__half7FuncSumIS1_E11ProtoSimpleILi1ELi1ELi0ELi4ELi0ELi0EELi0ELi4ELi0EEEviiP15ncclDevWorkColl.has_dyn_sized_stack)
	.set .L_Z44ncclDevFunc_Reduce_RING_SIMPLE_Sum_f16_0_0_4v.has_recursion, or(1, .L_ZN12_GLOBAL__N_17runRingI6__half7FuncSumIS1_E11ProtoSimpleILi1ELi1ELi0ELi4ELi0ELi0EELi0ELi4ELi0EEEviiP15ncclDevWorkColl.has_recursion)
	.set .L_Z44ncclDevFunc_Reduce_RING_SIMPLE_Sum_f16_0_0_4v.has_indirect_call, or(0, .L_ZN12_GLOBAL__N_17runRingI6__half7FuncSumIS1_E11ProtoSimpleILi1ELi1ELi0ELi4ELi0ELi0EELi0ELi4ELi0EEEviiP15ncclDevWorkColl.has_indirect_call)
	.section	.AMDGPU.csdata,"",@progbits
; Function info:
; codeLenInByte = 784
; TotalNumSgprs: 100
; NumVgprs: 64
; ScratchSize: 320
; MemoryBound: 0
	.section	.AMDGPU.gpr_maximums,"",@progbits
	.set amdgpu.max_num_vgpr, 64
	.set amdgpu.max_num_agpr, 0
	.set amdgpu.max_num_sgpr, 96
	.section	.AMDGPU.csdata,"",@progbits
	.type	__const.__assert_fail.fmt,@object ; @__const.__assert_fail.fmt
	.section	.rodata.str1.16,"aMS",@progbits,1
	.p2align	4, 0x0
__const.__assert_fail.fmt:
	.asciz	"%s:%u: %s: Device-side assertion `%s' failed.\n"
	.size	__const.__assert_fail.fmt, 47

	.type	.str.3,@object                  ; @.str.3
	.section	.rodata.str1.1,"aMS",@progbits,1
.str.3:
	.asciz	"2*(nrecv+nsend) <= nthreads"
	.size	.str.3, 28

	.type	.str.4,@object                  ; @.str.4
.str.4:
	.asciz	"/root/src/amdgpu-assembly/repos/ROCm__rccl/hipify/src/device/prims_simple.h"
	.size	.str.4, 76

	.type	__PRETTY_FUNCTION__._ZN10PrimitivesI6__half7FuncSumIS0_E12FanSymmetricILi1EELi0E11ProtoSimpleILi1ELi1ELi0ELi1ELi0ELi0EELi0ELb0ELi0ELi0ELi0EEC2EiiPKiS9_PKvPvmhhhP15ncclDevWorkCollP14ncclDevWorkP2pii,@object ; @__PRETTY_FUNCTION__._ZN10PrimitivesI6__half7FuncSumIS0_E12FanSymmetricILi1EELi0E11ProtoSimpleILi1ELi1ELi0ELi1ELi0ELi0EELi0ELb0ELi0ELi0ELi0EEC2EiiPKiS9_PKvPvmhhhP15ncclDevWorkCollP14ncclDevWorkP2pii
__PRETTY_FUNCTION__._ZN10PrimitivesI6__half7FuncSumIS0_E12FanSymmetricILi1EELi0E11ProtoSimpleILi1ELi1ELi0ELi1ELi0ELi0EELi0ELb0ELi0ELi0ELi0EEC2EiiPKiS9_PKvPvmhhhP15ncclDevWorkCollP14ncclDevWorkP2pii:
	.asciz	"Primitives<__half, FuncSum<__half>, FanSymmetric<1>, 0, ProtoSimple<1, 1, 0, 1>, 0>::Primitives(int, int, const int *, const int *, const void *, void *, uint64_t, uint8_t, uint8_t, uint8_t, struct ncclDevWorkColl *, struct ncclDevWorkP2p *, int, int) [T = __half, RedOp = FuncSum<__half>, Fan = FanSymmetric<1>, Direct = 0, Proto = ProtoSimple<1, 1, 0, 1>, P2p = 0, isNetOffload = false, Metadata = 0, Pipeline = 0, useAcc = 0]"
	.size	__PRETTY_FUNCTION__._ZN10PrimitivesI6__half7FuncSumIS0_E12FanSymmetricILi1EELi0E11ProtoSimpleILi1ELi1ELi0ELi1ELi0ELi0EELi0ELb0ELi0ELi0ELi0EEC2EiiPKiS9_PKvPvmhhhP15ncclDevWorkCollP14ncclDevWorkP2pii, 429

	.type	__PRETTY_FUNCTION__._ZN10PrimitivesI6__half7FuncSumIS0_E12FanSymmetricILi1EELi0E11ProtoSimpleILi1ELi1ELi0ELi2ELi0ELi0EELi0ELb0ELi0ELi0ELi0EEC2EiiPKiS9_PKvPvmhhhP15ncclDevWorkCollP14ncclDevWorkP2pii,@object ; @__PRETTY_FUNCTION__._ZN10PrimitivesI6__half7FuncSumIS0_E12FanSymmetricILi1EELi0E11ProtoSimpleILi1ELi1ELi0ELi2ELi0ELi0EELi0ELb0ELi0ELi0ELi0EEC2EiiPKiS9_PKvPvmhhhP15ncclDevWorkCollP14ncclDevWorkP2pii
__PRETTY_FUNCTION__._ZN10PrimitivesI6__half7FuncSumIS0_E12FanSymmetricILi1EELi0E11ProtoSimpleILi1ELi1ELi0ELi2ELi0ELi0EELi0ELb0ELi0ELi0ELi0EEC2EiiPKiS9_PKvPvmhhhP15ncclDevWorkCollP14ncclDevWorkP2pii:
	.asciz	"Primitives<__half, FuncSum<__half>, FanSymmetric<1>, 0, ProtoSimple<1, 1, 0, 2>, 0>::Primitives(int, int, const int *, const int *, const void *, void *, uint64_t, uint8_t, uint8_t, uint8_t, struct ncclDevWorkColl *, struct ncclDevWorkP2p *, int, int) [T = __half, RedOp = FuncSum<__half>, Fan = FanSymmetric<1>, Direct = 0, Proto = ProtoSimple<1, 1, 0, 2>, P2p = 0, isNetOffload = false, Metadata = 0, Pipeline = 0, useAcc = 0]"
	.size	__PRETTY_FUNCTION__._ZN10PrimitivesI6__half7FuncSumIS0_E12FanSymmetricILi1EELi0E11ProtoSimpleILi1ELi1ELi0ELi2ELi0ELi0EELi0ELb0ELi0ELi0ELi0EEC2EiiPKiS9_PKvPvmhhhP15ncclDevWorkCollP14ncclDevWorkP2pii, 429

	.type	__PRETTY_FUNCTION__._ZN10PrimitivesI6__half7FuncSumIS0_E12FanSymmetricILi1EELi0E11ProtoSimpleILi1ELi1ELi0ELi4ELi0ELi0EELi0ELb0ELi0ELi0ELi0EEC2EiiPKiS9_PKvPvmhhhP15ncclDevWorkCollP14ncclDevWorkP2pii,@object ; @__PRETTY_FUNCTION__._ZN10PrimitivesI6__half7FuncSumIS0_E12FanSymmetricILi1EELi0E11ProtoSimpleILi1ELi1ELi0ELi4ELi0ELi0EELi0ELb0ELi0ELi0ELi0EEC2EiiPKiS9_PKvPvmhhhP15ncclDevWorkCollP14ncclDevWorkP2pii
__PRETTY_FUNCTION__._ZN10PrimitivesI6__half7FuncSumIS0_E12FanSymmetricILi1EELi0E11ProtoSimpleILi1ELi1ELi0ELi4ELi0ELi0EELi0ELb0ELi0ELi0ELi0EEC2EiiPKiS9_PKvPvmhhhP15ncclDevWorkCollP14ncclDevWorkP2pii:
	.asciz	"Primitives<__half, FuncSum<__half>, FanSymmetric<1>, 0, ProtoSimple<1, 1, 0, 4>, 0>::Primitives(int, int, const int *, const int *, const void *, void *, uint64_t, uint8_t, uint8_t, uint8_t, struct ncclDevWorkColl *, struct ncclDevWorkP2p *, int, int) [T = __half, RedOp = FuncSum<__half>, Fan = FanSymmetric<1>, Direct = 0, Proto = ProtoSimple<1, 1, 0, 4>, P2p = 0, isNetOffload = false, Metadata = 0, Pipeline = 0, useAcc = 0]"
	.size	__PRETTY_FUNCTION__._ZN10PrimitivesI6__half7FuncSumIS0_E12FanSymmetricILi1EELi0E11ProtoSimpleILi1ELi1ELi0ELi4ELi0ELi0EELi0ELb0ELi0ELi0ELi0EEC2EiiPKiS9_PKvPvmhhhP15ncclDevWorkCollP14ncclDevWorkP2pii, 429

	.type	__hip_cuid_a9cb7bd2b688dca4,@object ; @__hip_cuid_a9cb7bd2b688dca4
	.section	.bss,"aw",@nobits
	.globl	__hip_cuid_a9cb7bd2b688dca4
__hip_cuid_a9cb7bd2b688dca4:
	.byte	0                               ; 0x0
	.size	__hip_cuid_a9cb7bd2b688dca4, 1

	.ident	"AMD clang version 22.0.0git (https://github.com/RadeonOpenCompute/llvm-project roc-7.2.4 26084 f58b06dce1f9c15707c5f808fd002e18c2accf7e)"
	.section	".note.GNU-stack","",@progbits
	.addrsig
	.addrsig_sym _Z44ncclDevFunc_Reduce_RING_SIMPLE_Sum_f16_0_0_1v
	.addrsig_sym _Z44ncclDevFunc_Reduce_RING_SIMPLE_Sum_f16_0_0_2v
	.addrsig_sym _Z44ncclDevFunc_Reduce_RING_SIMPLE_Sum_f16_0_0_4v
	.addrsig_sym ncclShmem
	.addrsig_sym __hip_cuid_a9cb7bd2b688dca4
	.amdgpu_metadata
---
amdhsa.kernels:  []
amdhsa.target:   amdgcn-amd-amdhsa--gfx906
amdhsa.version:
  - 1
  - 2
...

	.end_amdgpu_metadata
